;; amdgpu-corpus repo=ROCm/rocFFT kind=compiled arch=gfx1201 opt=O3
	.text
	.amdgcn_target "amdgcn-amd-amdhsa--gfx1201"
	.amdhsa_code_object_version 6
	.protected	bluestein_single_fwd_len1020_dim1_half_op_CI_CI ; -- Begin function bluestein_single_fwd_len1020_dim1_half_op_CI_CI
	.globl	bluestein_single_fwd_len1020_dim1_half_op_CI_CI
	.p2align	8
	.type	bluestein_single_fwd_len1020_dim1_half_op_CI_CI,@function
bluestein_single_fwd_len1020_dim1_half_op_CI_CI: ; @bluestein_single_fwd_len1020_dim1_half_op_CI_CI
; %bb.0:
	s_load_b128 s[8:11], s[0:1], 0x28
	v_mul_u32_u24_e32 v1, 0x3c4, v0
	s_mov_b32 s2, exec_lo
	s_delay_alu instid0(VALU_DEP_1) | instskip(NEXT) | instid1(VALU_DEP_1)
	v_lshrrev_b32_e32 v1, 16, v1
	v_mad_co_u64_u32 v[30:31], null, ttmp9, 3, v[1:2]
	v_mov_b32_e32 v31, 0
	s_wait_kmcnt 0x0
	s_delay_alu instid0(VALU_DEP_1)
	v_cmpx_gt_u64_e64 s[8:9], v[30:31]
	s_cbranch_execz .LBB0_31
; %bb.1:
	s_clause 0x1
	s_load_b128 s[4:7], s[0:1], 0x18
	s_load_b64 s[16:17], s[0:1], 0x0
	v_mul_lo_u16 v1, 0x44, v1
	s_movk_i32 s2, 0xfe46
	s_mov_b32 s3, -1
	s_delay_alu instid0(VALU_DEP_1) | instskip(NEXT) | instid1(VALU_DEP_1)
	v_sub_nc_u16 v7, v0, v1
	v_and_b32_e32 v84, 0xffff, v7
	s_wait_kmcnt 0x0
	s_load_b128 s[12:15], s[4:5], 0x0
	s_wait_kmcnt 0x0
	v_mad_co_u64_u32 v[0:1], null, s14, v30, 0
	v_mad_co_u64_u32 v[2:3], null, s12, v84, 0
	s_mul_u64 s[4:5], s[12:13], 0x1fe
	s_mul_u64 s[2:3], s[12:13], s[2:3]
	s_delay_alu instid0(SALU_CYCLE_1) | instskip(NEXT) | instid1(VALU_DEP_1)
	s_lshl_b64 s[2:3], s[2:3], 2
	v_mad_co_u64_u32 v[4:5], null, s15, v30, v[1:2]
	s_delay_alu instid0(VALU_DEP_2)
	v_mov_b32_e32 v1, v3
	v_lshlrev_b32_e32 v43, 2, v84
	s_clause 0x7
	global_load_b32 v52, v43, s[16:17]
	global_load_b32 v51, v43, s[16:17] offset:272
	global_load_b32 v49, v43, s[16:17] offset:544
	;; [unrolled: 1-line block ×7, first 2 shown]
	v_mad_co_u64_u32 v[5:6], null, s13, v84, v[1:2]
	v_mov_b32_e32 v1, v4
	s_clause 0x5
	global_load_b32 v50, v43, s[16:17] offset:2312
	global_load_b32 v48, v43, s[16:17] offset:2584
	;; [unrolled: 1-line block ×6, first 2 shown]
	v_add_co_u32 v245, s12, s16, v43
	s_wait_alu 0xf1ff
	v_add_co_ci_u32_e64 v246, null, s17, 0, s12
	v_mov_b32_e32 v3, v5
	v_lshlrev_b64_e32 v[0:1], 2, v[0:1]
	s_delay_alu instid0(VALU_DEP_2) | instskip(NEXT) | instid1(VALU_DEP_2)
	v_lshlrev_b64_e32 v[2:3], 2, v[2:3]
	v_add_co_u32 v0, vcc_lo, s10, v0
	s_delay_alu instid0(VALU_DEP_3) | instskip(SKIP_1) | instid1(VALU_DEP_2)
	v_add_co_ci_u32_e32 v1, vcc_lo, s11, v1, vcc_lo
	s_lshl_b64 s[10:11], s[4:5], 2
	v_add_co_u32 v0, vcc_lo, v0, v2
	s_wait_alu 0xfffd
	s_delay_alu instid0(VALU_DEP_2) | instskip(SKIP_1) | instid1(VALU_DEP_2)
	v_add_co_ci_u32_e32 v1, vcc_lo, v1, v3, vcc_lo
	s_wait_alu 0xfffe
	v_add_co_u32 v2, vcc_lo, v0, s10
	s_wait_alu 0xfffd
	s_delay_alu instid0(VALU_DEP_2)
	v_add_co_ci_u32_e32 v3, vcc_lo, s11, v1, vcc_lo
	s_clause 0x1
	global_load_b32 v5, v[0:1], off
	global_load_b32 v6, v[2:3], off
	v_add_co_u32 v0, vcc_lo, v2, s2
	s_wait_alu 0xfffd
	v_add_co_ci_u32_e32 v1, vcc_lo, s3, v3, vcc_lo
	s_delay_alu instid0(VALU_DEP_2) | instskip(SKIP_1) | instid1(VALU_DEP_2)
	v_add_co_u32 v2, vcc_lo, v0, s10
	s_wait_alu 0xfffd
	v_add_co_ci_u32_e32 v3, vcc_lo, s11, v1, vcc_lo
	s_clause 0x1
	global_load_b32 v8, v[0:1], off
	global_load_b32 v9, v[2:3], off
	v_add_co_u32 v0, vcc_lo, v2, s2
	s_wait_alu 0xfffd
	v_add_co_ci_u32_e32 v1, vcc_lo, s3, v3, vcc_lo
	s_delay_alu instid0(VALU_DEP_2) | instskip(SKIP_1) | instid1(VALU_DEP_2)
	v_add_co_u32 v2, vcc_lo, v0, s10
	s_wait_alu 0xfffd
	v_add_co_ci_u32_e32 v3, vcc_lo, s11, v1, vcc_lo
	global_load_b32 v10, v[0:1], off
	global_load_b32 v11, v[2:3], off
	v_add_co_u32 v0, vcc_lo, v2, s2
	s_wait_alu 0xfffd
	v_add_co_ci_u32_e32 v1, vcc_lo, s3, v3, vcc_lo
	s_delay_alu instid0(VALU_DEP_2) | instskip(SKIP_1) | instid1(VALU_DEP_2)
	v_add_co_u32 v2, vcc_lo, v0, s10
	s_wait_alu 0xfffd
	v_add_co_ci_u32_e32 v3, vcc_lo, s11, v1, vcc_lo
	global_load_b32 v12, v[0:1], off
	v_add_co_u32 v0, vcc_lo, v2, s2
	s_wait_alu 0xfffd
	v_add_co_ci_u32_e32 v1, vcc_lo, s3, v3, vcc_lo
	global_load_b32 v13, v[2:3], off
	global_load_b32 v14, v[0:1], off
	v_add_co_u32 v0, vcc_lo, v0, s10
	s_wait_alu 0xfffd
	v_add_co_ci_u32_e32 v1, vcc_lo, s11, v1, vcc_lo
	s_delay_alu instid0(VALU_DEP_2) | instskip(SKIP_1) | instid1(VALU_DEP_2)
	v_add_co_u32 v2, vcc_lo, v0, s2
	s_wait_alu 0xfffd
	v_add_co_ci_u32_e32 v3, vcc_lo, s3, v1, vcc_lo
	global_load_b32 v15, v[0:1], off
	v_add_co_u32 v0, vcc_lo, v2, s10
	s_wait_alu 0xfffd
	v_add_co_ci_u32_e32 v1, vcc_lo, s11, v3, vcc_lo
	global_load_b32 v16, v[2:3], off
	v_add_co_u32 v2, vcc_lo, v0, s2
	s_wait_alu 0xfffd
	v_add_co_ci_u32_e32 v3, vcc_lo, s3, v1, vcc_lo
	global_load_b32 v17, v[0:1], off
	v_add_co_u32 v0, vcc_lo, v2, s10
	s_wait_alu 0xfffd
	v_add_co_ci_u32_e32 v1, vcc_lo, s11, v3, vcc_lo
	global_load_b32 v18, v[2:3], off
	global_load_b32 v19, v[0:1], off
	v_mul_hi_u32 v2, 0xaaaaaaab, v30
	s_load_b64 s[8:9], s[0:1], 0x38
	s_load_b128 s[4:7], s[6:7], 0x0
	v_cmp_gt_u16_e32 vcc_lo, 34, v7
	s_delay_alu instid0(VALU_DEP_2) | instskip(NEXT) | instid1(VALU_DEP_1)
	v_lshrrev_b32_e32 v2, 1, v2
	v_lshl_add_u32 v2, v2, 1, v2
	s_delay_alu instid0(VALU_DEP_1) | instskip(NEXT) | instid1(VALU_DEP_1)
	v_sub_nc_u32_e32 v2, v30, v2
	v_mul_u32_u24_e32 v2, 0x3fc, v2
	s_delay_alu instid0(VALU_DEP_1) | instskip(NEXT) | instid1(VALU_DEP_1)
	v_lshlrev_b32_e32 v93, 2, v2
	v_add_nc_u32_e32 v63, v43, v93
	s_delay_alu instid0(VALU_DEP_1)
	v_add_nc_u32_e32 v4, 0x800, v63
	v_add_nc_u32_e32 v3, 0xa00, v63
	;; [unrolled: 1-line block ×3, first 2 shown]
	s_wait_loadcnt 0x1b
	v_lshrrev_b32_e32 v22, 16, v52
	s_wait_loadcnt 0x1a
	v_lshrrev_b32_e32 v25, 16, v51
	s_wait_loadcnt 0x19
	v_lshrrev_b32_e32 v36, 16, v49
	s_wait_loadcnt 0x18
	v_lshrrev_b32_e32 v34, 16, v32
	s_wait_loadcnt 0x17
	v_lshrrev_b32_e32 v29, 16, v28
	s_wait_loadcnt 0x16
	v_lshrrev_b32_e32 v42, 16, v47
	s_wait_loadcnt 0x15
	v_lshrrev_b32_e32 v38, 16, v53
	s_wait_loadcnt 0x13
	v_lshrrev_b32_e32 v37, 16, v50
	s_wait_loadcnt 0x12
	v_lshrrev_b32_e32 v35, 16, v48
	s_wait_loadcnt 0x11
	v_lshrrev_b32_e32 v33, 16, v31
	s_wait_loadcnt 0x10
	v_lshrrev_b32_e32 v27, 16, v26
	s_wait_loadcnt 0xf
	v_lshrrev_b32_e32 v41, 16, v46
	v_lshrrev_b32_e32 v40, 16, v45
	s_wait_loadcnt 0xe
	v_lshrrev_b32_e32 v39, 16, v44
	s_clause 0x15
	scratch_store_b32 off, v52, off offset:80
	scratch_store_b32 off, v53, off offset:84
	;; [unrolled: 1-line block ×13, first 2 shown]
	scratch_store_b32 off, v26, off
	scratch_store_b32 off, v42, off offset:44
	scratch_store_b32 off, v44, off offset:48
	scratch_store_b32 off, v47, off offset:60
	scratch_store_b32 off, v46, off offset:56
	scratch_store_b32 off, v45, off offset:52
	scratch_store_b32 off, v41, off offset:40
	scratch_store_b32 off, v40, off offset:36
	scratch_store_b32 off, v39, off offset:32
	s_wait_loadcnt 0xd
	v_lshrrev_b32_e32 v20, 16, v5
	v_mul_f16_e32 v21, v22, v5
	s_wait_loadcnt 0xc
	v_lshrrev_b32_e32 v23, 16, v6
	v_mul_f16_e32 v24, v38, v6
	v_mul_f16_e32 v22, v22, v20
	v_fma_f16 v20, v52, v20, -v21
	s_delay_alu instid0(VALU_DEP_2)
	v_fmac_f16_e32 v22, v52, v5
	v_mul_f16_e32 v5, v38, v23
	v_fma_f16 v23, v53, v23, -v24
	s_wait_loadcnt 0xb
	v_lshrrev_b32_e32 v21, 16, v8
	v_mul_f16_e32 v24, v25, v8
	v_pack_b32_f16 v20, v22, v20
	v_fmac_f16_e32 v5, v53, v6
	s_wait_loadcnt 0xa
	v_lshrrev_b32_e32 v22, 16, v9
	v_mul_f16_e32 v6, v25, v21
	v_mul_f16_e32 v25, v37, v9
	v_fma_f16 v21, v51, v21, -v24
	v_pack_b32_f16 v5, v5, v23
	s_delay_alu instid0(VALU_DEP_4)
	v_fmac_f16_e32 v6, v51, v8
	v_mul_f16_e32 v8, v37, v22
	s_wait_loadcnt 0x9
	v_lshrrev_b32_e32 v23, 16, v10
	v_fma_f16 v22, v50, v22, -v25
	v_mul_f16_e32 v24, v36, v10
	ds_store_b32 v63, v5 offset:2040
	v_pack_b32_f16 v5, v6, v21
	v_fmac_f16_e32 v8, v50, v9
	v_mul_f16_e32 v6, v36, v23
	s_wait_loadcnt 0x8
	v_lshrrev_b32_e32 v21, 16, v11
	v_fma_f16 v9, v49, v23, -v24
	v_mul_f16_e32 v23, v35, v11
	ds_store_2addr_b32 v63, v20, v5 offset1:68
	v_pack_b32_f16 v5, v8, v22
	v_fmac_f16_e32 v6, v49, v10
	v_mul_f16_e32 v8, v35, v21
	s_wait_loadcnt 0x7
	v_lshrrev_b32_e32 v10, 16, v12
	v_fma_f16 v20, v48, v21, -v23
	v_mul_f16_e32 v21, v34, v12
	v_pack_b32_f16 v6, v6, v9
	v_fmac_f16_e32 v8, v48, v11
	v_mul_f16_e32 v9, v34, v10
	s_wait_loadcnt 0x6
	v_lshrrev_b32_e32 v11, 16, v13
	v_fma_f16 v10, v32, v10, -v21
	v_mul_f16_e32 v22, v33, v13
	v_pack_b32_f16 v8, v8, v20
	v_fmac_f16_e32 v9, v32, v12
	s_wait_loadcnt 0x5
	v_lshrrev_b32_e32 v20, 16, v14
	v_mul_f16_e32 v12, v33, v11
	v_mul_f16_e32 v21, v29, v14
	ds_store_2addr_b32 v4, v5, v8 offset0:66 offset1:134
	v_pack_b32_f16 v5, v9, v10
	v_mul_f16_e32 v8, v29, v20
	v_fma_f16 v11, v31, v11, -v22
	v_fmac_f16_e32 v12, v31, v13
	v_fma_f16 v9, v28, v20, -v21
	ds_store_2addr_b32 v63, v6, v5 offset0:136 offset1:204
	v_fmac_f16_e32 v8, v28, v14
	s_wait_loadcnt 0x3
	v_lshrrev_b32_e32 v6, 16, v16
	v_lshrrev_b32_e32 v10, 16, v15
	v_mul_f16_e32 v13, v27, v15
	v_pack_b32_f16 v5, v12, v11
	v_mul_f16_e32 v12, v42, v16
	v_pack_b32_f16 v8, v8, v9
	v_mul_f16_e32 v9, v42, v6
	v_mul_f16_e32 v11, v27, v10
	v_fma_f16 v10, v26, v10, -v13
	s_wait_loadcnt 0x2
	v_lshrrev_b32_e32 v13, 16, v17
	v_fma_f16 v6, v47, v6, -v12
	v_mul_f16_e32 v12, v41, v17
	s_wait_loadcnt 0x1
	v_lshrrev_b32_e32 v14, 16, v18
	v_fmac_f16_e32 v9, v47, v16
	s_wait_loadcnt 0x0
	v_lshrrev_b32_e32 v16, 16, v19
	v_fmac_f16_e32 v11, v26, v15
	v_mul_f16_e32 v15, v41, v13
	v_fma_f16 v12, v46, v13, -v12
	v_mul_f16_e32 v13, v40, v18
	v_mul_f16_e32 v20, v40, v14
	;; [unrolled: 1-line block ×4, first 2 shown]
	v_fmac_f16_e32 v15, v46, v17
	v_fma_f16 v13, v45, v14, -v13
	v_fmac_f16_e32 v20, v45, v18
	v_fma_f16 v14, v44, v16, -v21
	v_fmac_f16_e32 v22, v44, v19
	v_pack_b32_f16 v11, v11, v10
	v_add_nc_u32_e32 v10, 0xc00, v63
	v_pack_b32_f16 v6, v9, v6
	v_pack_b32_f16 v9, v15, v12
	;; [unrolled: 1-line block ×4, first 2 shown]
	ds_store_2addr_b32 v3, v5, v11 offset0:74 offset1:142
	ds_store_2addr_b32 v2, v8, v6 offset0:16 offset1:84
	ds_store_b32 v63, v12 offset:1632
	ds_store_2addr_b32 v10, v9, v13 offset0:82 offset1:150
	s_and_saveexec_b32 s12, vcc_lo
	s_cbranch_execz .LBB0_3
; %bb.2:
	v_add_co_u32 v0, s2, v0, s2
	s_wait_alu 0xf1ff
	v_add_co_ci_u32_e64 v1, s2, s3, v1, s2
	s_delay_alu instid0(VALU_DEP_2) | instskip(SKIP_1) | instid1(VALU_DEP_2)
	v_add_co_u32 v5, s2, v0, s10
	s_wait_alu 0xf1ff
	v_add_co_ci_u32_e64 v6, s2, s11, v1, s2
	s_clause 0x1
	global_load_b32 v7, v[245:246], off offset:1904
	global_load_b32 v8, v[245:246], off offset:3944
	global_load_b32 v0, v[0:1], off
	global_load_b32 v1, v[5:6], off
	s_wait_loadcnt 0x3
	v_lshrrev_b32_e32 v5, 16, v7
	s_wait_loadcnt 0x2
	v_lshrrev_b32_e32 v6, 16, v8
	;; [unrolled: 2-line block ×4, first 2 shown]
	v_mul_f16_e32 v12, v5, v0
	s_delay_alu instid0(VALU_DEP_3) | instskip(NEXT) | instid1(VALU_DEP_3)
	v_mul_f16_e32 v5, v5, v9
	v_mul_f16_e32 v13, v6, v11
	;; [unrolled: 1-line block ×3, first 2 shown]
	s_delay_alu instid0(VALU_DEP_4) | instskip(NEXT) | instid1(VALU_DEP_4)
	v_fma_f16 v9, v7, v9, -v12
	v_fmac_f16_e32 v5, v7, v0
	s_delay_alu instid0(VALU_DEP_4) | instskip(NEXT) | instid1(VALU_DEP_4)
	v_fmac_f16_e32 v13, v8, v1
	v_fma_f16 v0, v8, v11, -v6
	s_delay_alu instid0(VALU_DEP_3) | instskip(NEXT) | instid1(VALU_DEP_2)
	v_pack_b32_f16 v1, v5, v9
	v_pack_b32_f16 v0, v13, v0
	ds_store_b32 v63, v1 offset:1904
	ds_store_b32 v63, v0 offset:3944
.LBB0_3:
	s_wait_alu 0xfffe
	s_or_b32 exec_lo, exec_lo, s12
	global_wb scope:SCOPE_SE
	s_wait_storecnt_dscnt 0x0
	s_wait_kmcnt 0x0
	s_barrier_signal -1
	s_barrier_wait -1
	global_inv scope:SCOPE_SE
	ds_load_2addr_b32 v[6:7], v63 offset1:68
	ds_load_2addr_b32 v[0:1], v2 offset0:152 offset1:254
	ds_load_2addr_b32 v[12:13], v4 offset0:66 offset1:134
	ds_load_2addr_b32 v[4:5], v63 offset0:136 offset1:204
	ds_load_2addr_b32 v[8:9], v3 offset0:74 offset1:142
	ds_load_2addr_b32 v[2:3], v2 offset0:16 offset1:84
	ds_load_2addr_b32 v[10:11], v10 offset0:82 offset1:150
                                        ; implicit-def: $vgpr14
                                        ; implicit-def: $vgpr15
	s_and_saveexec_b32 s2, vcc_lo
	s_cbranch_execz .LBB0_5
; %bb.4:
	ds_load_b32 v14, v63 offset:1904
	ds_load_b32 v15, v63 offset:3944
.LBB0_5:
	s_wait_alu 0xfffe
	s_or_b32 exec_lo, exec_lo, s2
	s_load_b64 s[2:3], s[0:1], 0x8
	v_add_co_u32 v40, s0, 0x44, v84
	s_wait_alu 0xf1ff
	v_add_co_ci_u32_e64 v16, null, 0, 0, s0
	v_add_co_u32 v37, s0, 0x154, v84
	v_add_co_u32 v39, null, 0x88, v84
	v_add_co_u32 v35, null, 0xcc, v84
	v_add_co_u32 v36, null, 0x110, v84
	s_wait_alu 0xf1ff
	v_add_co_ci_u32_e64 v16, null, 0, 0, s0
	v_add_co_u32 v38, s0, 0x198, v84
	v_add_co_u32 v41, null, 0x1dc, v84
	s_wait_dscnt 0x5
	v_pk_add_f16 v17, v6, v1 neg_lo:[0,1] neg_hi:[0,1]
	s_wait_dscnt 0x4
	v_pk_add_f16 v19, v7, v12 neg_lo:[0,1] neg_hi:[0,1]
	;; [unrolled: 2-line block ×4, first 2 shown]
	v_pk_add_f16 v32, v5, v8 neg_lo:[0,1] neg_hi:[0,1]
	v_pk_add_f16 v27, v2, v9 neg_lo:[0,1] neg_hi:[0,1]
	;; [unrolled: 1-line block ×4, first 2 shown]
	s_wait_alu 0xf1ff
	v_add_co_ci_u32_e64 v16, null, 0, 0, s0
	v_pk_fma_f16 v20, v14, 2.0, v21 op_sel_hi:[1,0,1] neg_lo:[0,0,1] neg_hi:[0,0,1]
	v_lshl_add_u32 v107, v84, 3, v93
	v_pk_fma_f16 v16, v6, 2.0, v17 op_sel_hi:[1,0,1] neg_lo:[0,0,1] neg_hi:[0,0,1]
	v_lshl_add_u32 v110, v40, 3, v93
	;; [unrolled: 2-line block ×8, first 2 shown]
	global_wb scope:SCOPE_SE
	s_wait_kmcnt 0x0
	s_barrier_signal -1
	s_barrier_wait -1
	global_inv scope:SCOPE_SE
	ds_store_b64 v107, v[16:17]
	ds_store_b64 v110, v[18:19]
	ds_store_b64 v28, v[33:34]
	ds_store_b64 v106, v[31:32]
	ds_store_b64 v108, v[26:27]
	ds_store_b64 v112, v[24:25]
	ds_store_b64 v113, v[22:23]
	s_and_saveexec_b32 s0, vcc_lo
	s_cbranch_execz .LBB0_7
; %bb.6:
	ds_store_b64 v109, v[20:21]
.LBB0_7:
	s_wait_alu 0xfffe
	s_or_b32 exec_lo, exec_lo, s0
	v_cmp_gt_u16_e64 s0, 60, v84
	v_lshrrev_b32_e32 v42, 16, v16
	v_lshrrev_b32_e32 v119, 16, v18
	;; [unrolled: 1-line block ×7, first 2 shown]
	global_wb scope:SCOPE_SE
	s_wait_dscnt 0x0
	s_barrier_signal -1
	s_barrier_wait -1
	global_inv scope:SCOPE_SE
                                        ; implicit-def: $vgpr44
                                        ; implicit-def: $vgpr124
	s_and_saveexec_b32 s1, s0
	s_cbranch_execz .LBB0_9
; %bb.8:
	v_add_nc_u32_e32 v0, 0x200, v63
	v_add_nc_u32_e32 v1, 0x400, v63
	;; [unrolled: 1-line block ×5, first 2 shown]
	ds_load_2addr_b32 v[16:17], v63 offset1:60
	ds_load_2addr_b32 v[18:19], v63 offset0:120 offset1:180
	ds_load_2addr_b32 v[33:34], v0 offset0:112 offset1:172
	ds_load_2addr_b32 v[31:32], v1 offset0:104 offset1:164
	ds_load_2addr_b32 v[26:27], v2 offset0:96 offset1:156
	ds_load_2addr_b32 v[24:25], v3 offset0:88 offset1:148
	ds_load_2addr_b32 v[22:23], v4 offset0:80 offset1:140
	v_add_nc_u32_e32 v0, 0xc00, v63
	ds_load_b32 v44, v63 offset:3840
	ds_load_2addr_b32 v[20:21], v0 offset0:72 offset1:132
	s_wait_dscnt 0x6
	v_lshrrev_b32_e32 v127, 16, v33
	s_wait_dscnt 0x5
	v_lshrrev_b32_e32 v126, 16, v31
	v_lshrrev_b32_e32 v42, 16, v16
	v_lshrrev_b32_e32 v119, 16, v18
	s_wait_dscnt 0x4
	v_lshrrev_b32_e32 v125, 16, v26
	s_wait_dscnt 0x3
	v_lshrrev_b32_e32 v123, 16, v24
	;; [unrolled: 2-line block ×4, first 2 shown]
.LBB0_9:
	s_wait_alu 0xfffe
	s_or_b32 exec_lo, exec_lo, s1
	v_and_b32_e32 v0, 1, v84
	v_lshrrev_b32_e32 v128, 16, v17
	s_wait_dscnt 0x0
	v_lshrrev_b32_e32 v136, 16, v21
	v_lshrrev_b32_e32 v129, 16, v19
	;; [unrolled: 1-line block ×3, first 2 shown]
	v_lshlrev_b32_e32 v4, 6, v0
	v_lshrrev_b32_e32 v135, 16, v20
	v_lshrrev_b32_e32 v130, 16, v34
	;; [unrolled: 1-line block ×4, first 2 shown]
	s_clause 0x3
	global_load_b128 v[12:15], v4, s[2:3]
	global_load_b128 v[8:11], v4, s[2:3] offset:16
	global_load_b128 v[0:3], v4, s[2:3] offset:32
	;; [unrolled: 1-line block ×3, first 2 shown]
	v_lshrrev_b32_e32 v133, 16, v25
	global_wb scope:SCOPE_SE
	s_wait_loadcnt 0x0
	s_barrier_signal -1
	s_barrier_wait -1
	global_inv scope:SCOPE_SE
	v_lshrrev_b32_e32 v250, 16, v12
	v_lshrrev_b32_e32 v251, 16, v13
	;; [unrolled: 1-line block ×5, first 2 shown]
	v_mul_f16_e64 v137, v128, v250
	v_mul_f16_e64 v62, v17, v250
	v_lshrrev_b32_e32 v249, 16, v14
	v_mul_f16_e64 v150, v124, v114
	v_mul_f16_e32 v46, v44, v114
	v_lshrrev_b32_e32 v105, 16, v5
	v_mul_f16_e64 v118, v119, v251
	v_mul_f16_e64 v117, v18, v251
	v_mul_f16_e32 v55, v27, v74
	v_mul_f16_e64 v149, v136, v29
	v_mul_f16_e32 v48, v21, v29
	v_fmac_f16_e64 v62, v128, v12
	v_fma_f16 v196, v17, v12, -v137
	v_fma_f16 v17, v44, v7, -v150
	v_fmac_f16_e32 v46, v124, v7
	v_lshrrev_b32_e32 v248, 16, v15
	v_lshrrev_b32_e32 v247, 16, v8
	;; [unrolled: 1-line block ×8, first 2 shown]
	v_mul_f16_e64 v120, v129, v249
	v_mul_f16_e64 v61, v19, v249
	;; [unrolled: 1-line block ×4, first 2 shown]
	v_mul_f16_e32 v50, v20, v105
	v_fma_f16 v122, v18, v13, -v118
	v_fmac_f16_e32 v117, v119, v13
	v_fmac_f16_e64 v55, v132, v0
	v_fma_f16 v18, v21, v6, -v149
	v_fmac_f16_e64 v48, v136, v6
	v_sub_f16_e64 v132, v196, v17
	v_sub_f16_e64 v199, v62, v46
	v_lshrrev_b32_e32 v66, 16, v2
	v_mul_f16_e64 v138, v127, v248
	v_mul_f16_e64 v60, v33, v248
	;; [unrolled: 1-line block ×8, first 2 shown]
	v_mul_f16_e32 v52, v22, v115
	v_mul_f16_e64 v147, v134, v111
	v_mul_f16_e32 v51, v23, v111
	v_fma_f16 v121, v19, v14, -v120
	v_fmac_f16_e64 v61, v129, v14
	v_fma_f16 v19, v20, v5, -v148
	v_fmac_f16_e64 v50, v135, v5
	v_add_f16_e64 v198, v196, v17
	v_add_f16_e32 v20, v62, v46
	v_sub_f16_e64 v135, v122, v18
	v_sub_f16_e64 v176, v117, v48
	v_mul_f16_e64 v200, 0xb5c8, v199
	v_mul_f16_e64 v161, 0xb5c8, v132
	;; [unrolled: 1-line block ×7, first 2 shown]
	v_mul_f16_e32 v58, v31, v64
	v_mul_f16_e32 v57, v32, v116
	;; [unrolled: 1-line block ×4, first 2 shown]
	v_mul_f16_e64 v145, v133, v66
	v_fma_f16 v120, v33, v15, -v138
	v_fma_f16 v118, v34, v8, -v139
	v_fmac_f16_e32 v60, v127, v15
	v_fma_f16 v119, v31, v9, -v140
	v_fma_f16 v32, v32, v10, -v141
	;; [unrolled: 1-line block ×5, first 2 shown]
	v_fmac_f16_e32 v52, v45, v3
	v_fma_f16 v22, v23, v4, -v147
	v_fmac_f16_e64 v51, v134, v4
	v_add_f16_e32 v21, v122, v18
	v_add_f16_e32 v23, v117, v48
	v_sub_f16_e64 v190, v61, v50
	v_sub_f16_e64 v141, v121, v19
	v_mul_f16_e64 v73, 0xb964, v176
	v_mul_f16_e64 v160, 0xb964, v135
	;; [unrolled: 1-line block ×6, first 2 shown]
	v_fma_f16 v33, 0x3b76, v198, v200
	v_fma_f16 v34, v20, 0x3b76, -v161
	v_fma_f16 v45, 0x39e9, v198, v201
	v_fma_f16 v146, v20, 0x39e9, -v178
	;; [unrolled: 2-line block ×3, first 2 shown]
	v_mul_f16_e32 v53, v25, v66
	v_fmac_f16_e64 v59, v130, v8
	v_fmac_f16_e32 v54, v123, v1
	v_fma_f16 v25, v25, v2, -v145
	v_add_f16_e32 v123, v121, v19
	v_add_f16_e32 v124, v61, v50
	v_sub_f16_e64 v192, v60, v51
	v_sub_f16_e64 v155, v120, v22
	v_mul_f16_e64 v72, 0xbb29, v190
	v_mul_f16_e64 v159, 0xbb29, v141
	v_mul_f16_e64 v167, 0xba62, v190
	v_mul_f16_e64 v175, 0xba62, v141
	v_mul_f16_e64 v185, 0x31e1, v190
	v_mul_f16_e64 v149, 0x31e1, v141
	v_fmamk_f16 v44, v21, 0x39e9, v73
	v_fma_f16 v145, v23, 0x39e9, -v160
	v_fma_f16 v203, 0x2de8, v21, v168
	v_fma_f16 v204, v23, 0x2de8, -v177
	v_fma_f16 v206, 0xb8d2, v21, v186
	v_fma_f16 v208, v23, 0xb8d2, -v150
	v_add_f16_e32 v33, v16, v33
	v_add_f16_e32 v34, v42, v34
	;; [unrolled: 1-line block ×3, first 2 shown]
	v_add_f16_e64 v146, v42, v146
	v_add_f16_e64 v205, v16, v205
	;; [unrolled: 1-line block ×3, first 2 shown]
	v_fmac_f16_e32 v58, v126, v9
	v_fmac_f16_e32 v56, v125, v11
	v_fmac_f16_e64 v53, v133, v2
	v_add_f16_e32 v125, v120, v22
	v_add_f16_e32 v126, v60, v51
	v_sub_f16_e64 v193, v59, v52
	v_sub_f16_e64 v157, v118, v24
	v_mul_f16_e64 v191, 0xbbf7, v192
	v_mul_f16_e64 v158, 0xbbf7, v155
	;; [unrolled: 1-line block ×6, first 2 shown]
	v_fma_f16 v209, 0x3722, v123, v72
	v_fma_f16 v210, v124, 0x3722, -v159
	v_fma_f16 v211, 0xb8d2, v123, v167
	v_fma_f16 v212, v124, 0xb8d2, -v175
	;; [unrolled: 2-line block ×3, first 2 shown]
	v_add_f16_e32 v33, v44, v33
	v_add_f16_e64 v34, v145, v34
	v_add_f16_e64 v44, v203, v45
	;; [unrolled: 1-line block ×5, first 2 shown]
	v_fmac_f16_e64 v57, v131, v10
	v_add_f16_e32 v127, v118, v24
	v_add_f16_e64 v128, v59, v52
	v_sub_f16_e64 v194, v58, v53
	v_sub_f16_e64 v163, v119, v25
	v_mul_f16_e64 v188, 0xbbb2, v193
	v_mul_f16_e64 v156, 0xbbb2, v157
	;; [unrolled: 1-line block ×6, first 2 shown]
	v_fma_f16 v215, 0x2de8, v125, v191
	v_fma_f16 v216, v126, 0x2de8, -v158
	v_fma_f16 v217, 0xbbdd, v125, v165
	v_fma_f16 v218, v126, 0xbbdd, -v174
	;; [unrolled: 2-line block ×3, first 2 shown]
	v_add_f16_e64 v33, v209, v33
	v_add_f16_e64 v34, v210, v34
	;; [unrolled: 1-line block ×6, first 2 shown]
	v_fma_f16 v27, v27, v0, -v143
	v_add_f16_e64 v129, v119, v25
	v_add_f16_e64 v130, v58, v53
	v_sub_f16_e64 v195, v57, v54
	v_sub_f16_e64 v171, v32, v26
	v_mul_f16_e64 v189, 0xba62, v194
	v_mul_f16_e64 v76, 0xba62, v163
	;; [unrolled: 1-line block ×6, first 2 shown]
	v_fma_f16 v221, 0xb461, v127, v188
	v_fma_f16 v222, v128, 0xb461, -v156
	v_fma_f16 v223, 0xbacd, v127, v166
	v_fma_f16 v224, v128, 0xbacd, -v173
	;; [unrolled: 2-line block ×3, first 2 shown]
	v_add_f16_e64 v33, v215, v33
	v_add_f16_e64 v34, v216, v34
	;; [unrolled: 1-line block ×8, first 2 shown]
	v_sub_f16_e64 v197, v56, v55
	v_sub_f16_e64 v182, v31, v27
	v_mul_f16_e64 v68, 0xb836, v195
	v_mul_f16_e64 v153, 0xb836, v171
	;; [unrolled: 1-line block ×6, first 2 shown]
	v_fma_f16 v227, 0xb8d2, v129, v189
	v_fma_f16 v228, v130, 0xb8d2, -v76
	v_fma_f16 v229, 0xb461, v129, v164
	v_fma_f16 v230, v130, 0xb461, -v172
	;; [unrolled: 2-line block ×3, first 2 shown]
	v_add_f16_e64 v33, v221, v33
	v_add_f16_e64 v34, v222, v34
	;; [unrolled: 1-line block ×8, first 2 shown]
	v_mul_f16_e64 v154, 0xb1e1, v197
	v_mul_f16_e64 v65, 0xb1e1, v182
	;; [unrolled: 1-line block ×6, first 2 shown]
	v_fma_f16 v233, 0xbacd, v131, v68
	v_fma_f16 v234, v134, 0xbacd, -v153
	v_fma_f16 v235, 0x3722, v131, v162
	v_fma_f16 v236, v134, 0x3722, -v170
	;; [unrolled: 2-line block ×3, first 2 shown]
	v_add_f16_e64 v33, v227, v33
	v_add_f16_e64 v34, v228, v34
	;; [unrolled: 1-line block ×6, first 2 shown]
	v_fma_f16 v239, 0xbbdd, v133, v154
	v_fma_f16 v240, v136, 0xbbdd, -v65
	v_fma_f16 v241, 0x3b76, v133, v187
	v_fma_f16 v242, v136, 0x3b76, -v169
	;; [unrolled: 2-line block ×3, first 2 shown]
	v_add_f16_e64 v33, v233, v33
	v_add_f16_e64 v34, v234, v34
	;; [unrolled: 1-line block ×12, first 2 shown]
	s_and_saveexec_b32 s1, s0
	s_cbranch_execz .LBB0_11
; %bb.10:
	v_mul_f16_e64 v203, 0x3722, v198
	v_mul_f16_e64 v204, 0xbbf7, v199
	;; [unrolled: 1-line block ×5, first 2 shown]
	v_sub_f16_e64 v202, v203, v202
	v_mul_f16_e64 v203, 0x39e9, v198
	v_fma_f16 v208, 0xbacd, v198, v205
	v_fma_f16 v205, v198, 0xbacd, -v205
	v_fma_f16 v210, 0xb461, v198, v206
	v_fma_f16 v206, v198, 0xb461, -v206
	v_sub_f16_e64 v201, v203, v201
	v_mul_f16_e64 v203, 0xb1e1, v199
	v_mul_f16_e64 v199, 0xba62, v199
	v_fma_f16 v211, 0x2de8, v198, v204
	v_fma_f16 v204, v198, 0x2de8, -v204
	v_add_f16_e64 v210, v16, v210
	v_fma_f16 v207, 0xbbdd, v198, v203
	v_fma_f16 v203, v198, 0xbbdd, -v203
	v_fma_f16 v209, 0xb8d2, v198, v199
	v_fma_f16 v199, v198, 0xb8d2, -v199
	v_mul_f16_e64 v198, 0x3b76, v198
	v_add_f16_e64 v208, v16, v208
	v_add_f16_e64 v207, v16, v207
	;; [unrolled: 1-line block ×4, first 2 shown]
	v_sub_f16_e64 v198, v198, v200
	v_add_f16_e64 v200, v16, v211
	v_add_f16_e64 v205, v16, v205
	;; [unrolled: 1-line block ×9, first 2 shown]
	v_fma_f16 v16, 0x3bf7, v132, v212
	v_mul_f16_e64 v213, 0xbbdd, v23
	v_mul_f16_e64 v214, 0xb461, v124
	;; [unrolled: 1-line block ×4, first 2 shown]
	v_add_f16_e32 v16, v42, v16
	v_fma_f16 v196, 0x31e1, v135, v213
	v_mul_f16_e64 v227, 0xbacd, v23
	v_mul_f16_e64 v243, 0xb461, v23
	v_mov_b32_e32 v137, v77
	v_mov_b32_e32 v77, v74
	v_add_f16_e64 v16, v196, v16
	v_fma_f16 v196, 0xbbb2, v141, v214
	v_fma_f16 v228, 0xb836, v135, v227
	;; [unrolled: 1-line block ×3, first 2 shown]
	v_mov_b32_e32 v74, v70
	v_mov_b32_e32 v70, v66
	v_add_f16_e64 v16, v196, v16
	v_fma_f16 v196, 0xb5c8, v155, v215
	v_dual_mov_b32 v66, v115 :: v_dual_mov_b32 v115, v113
	v_dual_mov_b32 v113, v111 :: v_dual_mov_b32 v138, v29
	s_delay_alu instid0(VALU_DEP_3) | instskip(SKIP_4) | instid1(VALU_DEP_4)
	v_add_f16_e64 v16, v196, v16
	v_fma_f16 v196, 0xbbdd, v21, v216
	v_mov_b32_e32 v111, v109
	v_dual_mov_b32 v109, v107 :: v_dual_mov_b32 v140, v248
	v_dual_mov_b32 v107, v105 :: v_dual_mov_b32 v142, v249
	v_add_f16_e64 v196, v196, v200
	v_mul_f16_e64 v200, 0x3722, v128
	v_dual_mov_b32 v105, v28 :: v_dual_mov_b32 v144, v251
	v_dual_mov_b32 v28, v245 :: v_dual_mov_b32 v29, v246
	s_delay_alu instid0(VALU_DEP_3)
	v_fma_f16 v217, 0x3b29, v157, v200
	v_mov_b32_e32 v139, v247
	v_mov_b32_e32 v143, v250
	v_mul_f16_e32 v67, 0x3722, v23
	v_mul_f16_e32 v99, 0x3b76, v23
	v_add_f16_e64 v16, v217, v16
	v_mul_f16_e64 v217, 0x3bb2, v190
	v_fmac_f16_e64 v243, 0x3bb2, v135
	v_fma_f16 v69, 0xbb29, v135, v67
	v_fma_f16 v49, 0xb5c8, v135, v99
	v_fmac_f16_e64 v99, 0x35c8, v135
	v_fma_f16 v218, 0xb461, v123, v217
	v_fmac_f16_e64 v67, 0x3b29, v135
	v_add_f16_e32 v62, v42, v62
	v_fmac_f16_e64 v212, 0xbbf7, v132
	v_fmac_f16_e64 v227, 0x3836, v135
	v_add_f16_e64 v196, v218, v196
	v_mul_f16_e64 v218, 0xbacd, v130
	v_add_f16_e32 v62, v62, v117
	v_fmac_f16_e64 v213, 0xb1e1, v135
	v_fmac_f16_e64 v214, 0x3bb2, v141
	v_fmac_f16_e64 v215, 0x35c8, v155
	v_fma_f16 v219, 0x3836, v163, v218
	v_add_f16_e32 v61, v62, v61
	v_fmac_f16_e64 v200, 0xbb29, v157
	v_fmac_f16_e64 v218, 0xb836, v163
	s_delay_alu instid0(VALU_DEP_4) | instskip(SKIP_2) | instid1(VALU_DEP_2)
	v_add_f16_e64 v16, v219, v16
	v_mul_f16_e64 v219, 0x35c8, v192
	v_add_f16_e32 v60, v61, v60
	v_fma_f16 v220, 0x3b76, v125, v219
	s_delay_alu instid0(VALU_DEP_2) | instskip(SKIP_1) | instid1(VALU_DEP_3)
	v_add_f16_e32 v59, v60, v59
	v_mul_f16_e64 v60, 0x3722, v131
	v_add_f16_e64 v196, v220, v196
	v_mul_f16_e64 v220, 0xb8d2, v134
	s_delay_alu instid0(VALU_DEP_3) | instskip(NEXT) | instid1(VALU_DEP_2)
	v_sub_f16_e64 v60, v60, v162
	v_fma_f16 v221, 0xba62, v171, v220
	v_fmac_f16_e64 v220, 0x3a62, v171
	s_delay_alu instid0(VALU_DEP_2) | instskip(SKIP_1) | instid1(VALU_DEP_1)
	v_add_f16_e64 v16, v221, v16
	v_mul_f16_e64 v221, 0xbb29, v193
	v_fma_f16 v222, 0x3722, v127, v221
	s_delay_alu instid0(VALU_DEP_1) | instskip(SKIP_1) | instid1(VALU_DEP_1)
	v_add_f16_e64 v196, v222, v196
	v_mul_f16_e64 v222, 0x39e9, v136
	v_fma_f16 v223, 0xb964, v182, v222
	v_fmac_f16_e64 v222, 0x3964, v182
	s_delay_alu instid0(VALU_DEP_2) | instskip(SKIP_2) | instid1(VALU_DEP_2)
	v_add_f16_e64 v85, v223, v16
	v_mul_f16_e64 v223, 0xb836, v194
	v_mov_b32_e32 v16, v145
	v_fma_f16 v224, 0xbacd, v129, v223
	s_delay_alu instid0(VALU_DEP_1) | instskip(SKIP_1) | instid1(VALU_DEP_1)
	v_add_f16_e64 v196, v224, v196
	v_mul_f16_e64 v224, 0x3a62, v195
	v_fma_f16 v225, 0xb8d2, v131, v224
	s_delay_alu instid0(VALU_DEP_1) | instskip(SKIP_1) | instid1(VALU_DEP_1)
	v_add_f16_e64 v196, v225, v196
	v_mul_f16_e64 v225, 0xb461, v20
	v_fma_f16 v226, 0x3bb2, v132, v225
	v_fmac_f16_e64 v225, 0xbbb2, v132
	s_delay_alu instid0(VALU_DEP_2) | instskip(NEXT) | instid1(VALU_DEP_1)
	v_add_f16_e64 v226, v42, v226
	v_add_f16_e64 v226, v228, v226
	v_mul_f16_e64 v228, 0x3964, v197
	s_delay_alu instid0(VALU_DEP_1) | instskip(NEXT) | instid1(VALU_DEP_1)
	v_fma_f16 v229, 0x39e9, v133, v228
	v_add_f16_e64 v86, v229, v196
	v_mul_f16_e64 v229, 0x39e9, v124
	v_dual_mov_b32 v196, v65 :: v_dual_mov_b32 v145, v146
	v_mov_b32_e32 v146, v73
	s_delay_alu instid0(VALU_DEP_3) | instskip(SKIP_1) | instid1(VALU_DEP_2)
	v_fma_f16 v230, 0xb964, v141, v229
	v_fmac_f16_e64 v229, 0x3964, v141
	v_add_f16_e64 v226, v230, v226
	v_mul_f16_e64 v230, 0x3722, v126
	s_delay_alu instid0(VALU_DEP_1) | instskip(SKIP_1) | instid1(VALU_DEP_2)
	v_fma_f16 v231, 0x3b29, v155, v230
	v_fmac_f16_e64 v230, 0xbb29, v155
	v_add_f16_e64 v226, v231, v226
	v_mul_f16_e64 v231, 0x3836, v176
	s_delay_alu instid0(VALU_DEP_1) | instskip(NEXT) | instid1(VALU_DEP_1)
	v_fma_f16 v232, 0xbacd, v21, v231
	v_add_f16_e64 v210, v232, v210
	v_mul_f16_e64 v232, 0xbbdd, v128
	s_delay_alu instid0(VALU_DEP_1) | instskip(SKIP_1) | instid1(VALU_DEP_2)
	v_fma_f16 v233, 0x31e1, v157, v232
	v_fmac_f16_e64 v232, 0xb1e1, v157
	v_add_f16_e64 v226, v233, v226
	v_mul_f16_e64 v233, 0x3964, v190
	s_delay_alu instid0(VALU_DEP_1) | instskip(NEXT) | instid1(VALU_DEP_1)
	v_fma_f16 v234, 0x39e9, v123, v233
	;; [unrolled: 9-line block ×5, first 2 shown]
	v_add_f16_e64 v210, v240, v210
	v_mul_f16_e64 v240, 0xb5c8, v195
	s_delay_alu instid0(VALU_DEP_1) | instskip(NEXT) | instid1(VALU_DEP_1)
	v_fma_f16 v241, 0x3b76, v131, v240
	v_add_f16_e64 v210, v241, v210
	v_mul_f16_e64 v241, 0xb8d2, v20
	s_delay_alu instid0(VALU_DEP_1) | instskip(SKIP_1) | instid1(VALU_DEP_2)
	v_fma_f16 v242, 0x3a62, v132, v241
	v_fmac_f16_e64 v241, 0xba62, v132
	v_add_f16_e64 v242, v42, v242
	s_delay_alu instid0(VALU_DEP_1) | instskip(SKIP_1) | instid1(VALU_DEP_1)
	v_add_f16_e64 v242, v244, v242
	v_mul_f16_e64 v244, 0xba62, v197
	v_fma_f16 v245, 0xb8d2, v133, v244
	s_delay_alu instid0(VALU_DEP_1) | instskip(SKIP_1) | instid1(VALU_DEP_1)
	v_add_f16_e64 v210, v245, v210
	v_mul_f16_e64 v245, 0x3b76, v124
	v_fma_f16 v246, 0x35c8, v141, v245
	v_fmac_f16_e64 v245, 0xb5c8, v141
	s_delay_alu instid0(VALU_DEP_2) | instskip(SKIP_1) | instid1(VALU_DEP_1)
	v_add_f16_e64 v242, v246, v242
	v_mul_f16_e64 v246, 0xbacd, v126
	v_fma_f16 v247, 0x3836, v155, v246
	v_fmac_f16_e64 v246, 0xb836, v155
	s_delay_alu instid0(VALU_DEP_2) | instskip(SKIP_1) | instid1(VALU_DEP_1)
	v_add_f16_e64 v242, v247, v242
	v_mul_f16_e64 v247, 0x3bb2, v176
	v_fma_f16 v248, 0xb461, v21, v247
	s_delay_alu instid0(VALU_DEP_1) | instskip(SKIP_1) | instid1(VALU_DEP_1)
	v_add_f16_e64 v209, v248, v209
	v_mul_f16_e64 v248, 0x2de8, v128
	v_fma_f16 v249, 0xbbf7, v157, v248
	v_fmac_f16_e64 v248, 0x3bf7, v157
	s_delay_alu instid0(VALU_DEP_2) | instskip(SKIP_1) | instid1(VALU_DEP_1)
	v_add_f16_e64 v242, v249, v242
	v_mul_f16_e64 v249, 0xb5c8, v190
	v_fma_f16 v250, 0x3b76, v123, v249
	s_delay_alu instid0(VALU_DEP_1) | instskip(SKIP_1) | instid1(VALU_DEP_1)
	;; [unrolled: 9-line block ×5, first 2 shown]
	v_add_f16_e64 v100, v100, v209
	v_mul_f16_e64 v209, 0xb1e1, v195
	v_fma_f16 v94, 0xbbdd, v131, v209
	s_delay_alu instid0(VALU_DEP_1) | instskip(SKIP_1) | instid1(VALU_DEP_1)
	v_add_f16_e32 v94, v94, v100
	v_mul_f16_e32 v100, 0xbacd, v20
	v_fma_f16 v65, 0x3836, v132, v100
	v_fmac_f16_e64 v100, 0xb836, v132
	s_delay_alu instid0(VALU_DEP_2) | instskip(NEXT) | instid1(VALU_DEP_1)
	v_add_f16_e32 v65, v42, v65
	v_add_f16_e32 v65, v69, v65
	v_mul_f16_e64 v69, 0x3b29, v197
	s_delay_alu instid0(VALU_DEP_1) | instskip(SKIP_1) | instid1(VALU_DEP_2)
	v_fma_f16 v71, 0x3722, v133, v69
	v_fma_f16 v69, v133, 0x3722, -v69
	v_add_f16_e32 v71, v71, v94
	v_mul_f16_e32 v94, 0x2de8, v124
	s_delay_alu instid0(VALU_DEP_1) | instskip(SKIP_1) | instid1(VALU_DEP_2)
	v_fma_f16 v73, 0x3bf7, v141, v94
	v_fmac_f16_e64 v94, 0xbbf7, v141
	v_add_f16_e32 v65, v73, v65
	v_mul_f16_e32 v73, 0xb8d2, v126
	s_delay_alu instid0(VALU_DEP_1) | instskip(SKIP_1) | instid1(VALU_DEP_2)
	v_fma_f16 v75, 0xba62, v155, v73
	v_fmac_f16_e64 v73, 0x3a62, v155
	v_add_f16_e32 v65, v75, v65
	v_mul_f16_e64 v75, 0x3b29, v176
	s_delay_alu instid0(VALU_DEP_1) | instskip(SKIP_1) | instid1(VALU_DEP_2)
	v_fmamk_f16 v78, v21, 0x3722, v75
	v_fma_f16 v75, v21, 0x3722, -v75
	v_add_f16_e64 v78, v78, v208
	v_mul_f16_e64 v208, 0x3b76, v128
	s_delay_alu instid0(VALU_DEP_3) | instskip(NEXT) | instid1(VALU_DEP_2)
	v_add_f16_e64 v75, v75, v205
	v_fma_f16 v79, 0x35c8, v157, v208
	v_fmac_f16_e64 v208, 0xb5c8, v157
	s_delay_alu instid0(VALU_DEP_2) | instskip(SKIP_1) | instid1(VALU_DEP_1)
	v_add_f16_e32 v65, v79, v65
	v_mul_f16_e64 v79, 0xbbf7, v190
	v_fmamk_f16 v82, v123, 0x2de8, v79
	v_fma_f16 v79, v123, 0x2de8, -v79
	s_delay_alu instid0(VALU_DEP_2) | instskip(SKIP_1) | instid1(VALU_DEP_3)
	v_add_f16_e32 v78, v82, v78
	v_mul_f16_e64 v82, 0xbbdd, v130
	v_add_f16_e32 v75, v79, v75
	s_delay_alu instid0(VALU_DEP_2) | instskip(SKIP_1) | instid1(VALU_DEP_2)
	v_fma_f16 v83, 0x31e1, v163, v82
	v_fmac_f16_e64 v82, 0xb1e1, v163
	v_add_f16_e32 v65, v83, v65
	v_mul_f16_e64 v83, 0x3a62, v192
	s_delay_alu instid0(VALU_DEP_1) | instskip(SKIP_3) | instid1(VALU_DEP_4)
	v_fmamk_f16 v87, v125, 0xb8d2, v83
	v_fma_f16 v79, v125, 0xb8d2, -v83
	v_fma_f16 v83, v125, 0xbacd, -v251
	v_mov_b32_e32 v251, v144
	v_add_f16_e32 v78, v87, v78
	v_mul_f16_e64 v87, 0x39e9, v134
	v_add_f16_e32 v75, v79, v75
	s_delay_alu instid0(VALU_DEP_2) | instskip(SKIP_1) | instid1(VALU_DEP_2)
	v_fma_f16 v88, 0xb964, v171, v87
	v_fmac_f16_e64 v87, 0x3964, v171
	v_add_f16_e32 v65, v88, v65
	v_mul_f16_e64 v88, 0xb5c8, v193
	s_delay_alu instid0(VALU_DEP_1) | instskip(SKIP_2) | instid1(VALU_DEP_3)
	v_fmamk_f16 v91, v127, 0x3b76, v88
	v_fma_f16 v79, v127, 0x3b76, -v88
	v_fma_f16 v88, v133, 0xb8d2, -v244
	v_add_f16_e32 v78, v91, v78
	v_mul_f16_e64 v91, 0xb461, v136
	s_delay_alu instid0(VALU_DEP_4) | instskip(SKIP_1) | instid1(VALU_DEP_3)
	v_add_f16_e32 v75, v79, v75
	v_add_f16_e64 v79, v42, v241
	v_fma_f16 v92, 0x3bb2, v182, v91
	v_fmac_f16_e64 v91, 0xbbb2, v182
	s_delay_alu instid0(VALU_DEP_3) | instskip(NEXT) | instid1(VALU_DEP_3)
	v_add_f16_e64 v79, v243, v79
	v_add_f16_e32 v65, v92, v65
	v_mul_f16_e64 v92, 0xb1e1, v194
	s_delay_alu instid0(VALU_DEP_3) | instskip(NEXT) | instid1(VALU_DEP_2)
	v_add_f16_e64 v79, v245, v79
	v_fma_f16 v95, 0xbbdd, v129, v92
	s_delay_alu instid0(VALU_DEP_2) | instskip(SKIP_2) | instid1(VALU_DEP_4)
	v_add_f16_e64 v79, v246, v79
	v_dual_mov_b32 v246, v29 :: v_dual_mov_b32 v245, v28
	v_mov_b32_e32 v28, v105
	v_add_f16_e32 v78, v95, v78
	v_mul_f16_e64 v95, 0x3964, v195
	v_mov_b32_e32 v105, v107
	v_mov_b32_e32 v107, v109
	;; [unrolled: 1-line block ×4, first 2 shown]
	v_fma_f16 v98, 0x39e9, v131, v95
	v_mov_b32_e32 v113, v115
	v_mov_b32_e32 v29, v138
	v_dual_mov_b32 v115, v66 :: v_dual_mov_b32 v66, v70
	s_delay_alu instid0(VALU_DEP_4) | instskip(SKIP_3) | instid1(VALU_DEP_3)
	v_add_f16_e32 v78, v98, v78
	v_mul_f16_e32 v98, 0xbbdd, v20
	v_mov_b32_e32 v70, v74
	v_dual_mov_b32 v74, v77 :: v_dual_mov_b32 v77, v137
	v_fma_f16 v47, 0x31e1, v132, v98
	v_fmac_f16_e64 v98, 0xb1e1, v132
	s_delay_alu instid0(VALU_DEP_2) | instskip(NEXT) | instid1(VALU_DEP_2)
	v_add_f16_e32 v47, v42, v47
	v_add_f16_e32 v98, v42, v98
	s_delay_alu instid0(VALU_DEP_2) | instskip(SKIP_1) | instid1(VALU_DEP_3)
	v_add_f16_e32 v47, v49, v47
	v_mul_f16_e64 v49, 0xbbb2, v197
	v_add_f16_e32 v98, v99, v98
	v_mul_f16_e64 v99, 0x3b29, v194
	s_delay_alu instid0(VALU_DEP_3) | instskip(SKIP_1) | instid1(VALU_DEP_2)
	v_fma_f16 v102, 0xb461, v133, v49
	v_fma_f16 v49, v133, 0xb461, -v49
	v_add_f16_e32 v78, v102, v78
	v_mul_f16_e32 v102, 0xbacd, v124
	s_delay_alu instid0(VALU_DEP_1) | instskip(SKIP_1) | instid1(VALU_DEP_2)
	v_fma_f16 v103, 0x3836, v141, v102
	v_fmac_f16_e64 v102, 0xb836, v141
	v_add_f16_e32 v47, v103, v47
	v_mul_f16_e32 v103, 0x39e9, v126
	s_delay_alu instid0(VALU_DEP_3) | instskip(SKIP_1) | instid1(VALU_DEP_3)
	v_add_f16_e32 v98, v102, v98
	v_mul_f16_e64 v102, 0x2de8, v136
	v_fma_f16 v96, 0xb964, v155, v103
	v_fmac_f16_e64 v103, 0x3964, v155
	s_delay_alu instid0(VALU_DEP_2) | instskip(SKIP_1) | instid1(VALU_DEP_3)
	v_add_f16_e32 v47, v96, v47
	v_mul_f16_e64 v96, 0x35c8, v176
	v_add_f16_e32 v98, v103, v98
	v_mul_f16_e64 v103, 0x3bf7, v197
	s_delay_alu instid0(VALU_DEP_3) | instskip(SKIP_1) | instid1(VALU_DEP_2)
	v_fma_f16 v176, 0x3b76, v21, v96
	v_fma_f16 v96, v21, 0x3b76, -v96
	v_add_f16_e64 v176, v176, v207
	v_mul_f16_e64 v207, 0xb8d2, v128
	s_delay_alu instid0(VALU_DEP_3) | instskip(NEXT) | instid1(VALU_DEP_2)
	v_add_f16_e64 v96, v96, v203
	v_fma_f16 v97, 0x3a62, v157, v207
	v_fmac_f16_e64 v207, 0xba62, v157
	s_delay_alu instid0(VALU_DEP_2) | instskip(SKIP_1) | instid1(VALU_DEP_3)
	v_add_f16_e32 v47, v97, v47
	v_mul_f16_e64 v97, 0xb836, v190
	v_add_f16_e64 v98, v207, v98
	s_delay_alu instid0(VALU_DEP_2) | instskip(SKIP_1) | instid1(VALU_DEP_2)
	v_fma_f16 v190, 0xbacd, v123, v97
	v_fma_f16 v97, v123, 0xbacd, -v97
	v_add_f16_e64 v176, v190, v176
	v_mul_f16_e64 v190, 0x3722, v130
	s_delay_alu instid0(VALU_DEP_3) | instskip(NEXT) | instid1(VALU_DEP_2)
	v_add_f16_e32 v96, v97, v96
	v_fma_f16 v101, 0xbb29, v163, v190
	v_fmac_f16_e64 v190, 0x3b29, v163
	s_delay_alu instid0(VALU_DEP_2) | instskip(SKIP_1) | instid1(VALU_DEP_3)
	v_add_f16_e32 v47, v101, v47
	v_mul_f16_e64 v101, 0x3964, v192
	v_add_f16_e64 v98, v190, v98
	s_delay_alu instid0(VALU_DEP_2) | instskip(NEXT) | instid1(VALU_DEP_1)
	v_fma_f16 v192, 0x39e9, v125, v101
	v_add_f16_e64 v176, v192, v176
	v_mul_f16_e64 v192, 0xb461, v134
	s_delay_alu instid0(VALU_DEP_1) | instskip(SKIP_1) | instid1(VALU_DEP_2)
	v_fma_f16 v104, 0x3bb2, v171, v192
	v_fmac_f16_e64 v192, 0xbbb2, v171
	v_add_f16_e32 v47, v104, v47
	v_mul_f16_e64 v104, 0xba62, v193
	s_delay_alu instid0(VALU_DEP_3) | instskip(SKIP_1) | instid1(VALU_DEP_3)
	v_add_f16_e64 v97, v192, v98
	v_fma_f16 v98, v125, 0x39e9, -v101
	v_fma_f16 v193, 0xb8d2, v127, v104
	s_delay_alu instid0(VALU_DEP_2) | instskip(SKIP_1) | instid1(VALU_DEP_3)
	v_add_f16_e32 v96, v98, v96
	v_fma_f16 v98, v127, 0xb8d2, -v104
	v_add_f16_e64 v176, v193, v176
	v_fma_f16 v193, 0x3722, v129, v99
	s_delay_alu instid0(VALU_DEP_3) | instskip(SKIP_1) | instid1(VALU_DEP_3)
	v_add_f16_e32 v96, v98, v96
	v_add_f16_e32 v98, v42, v100
	v_add_f16_e64 v176, v193, v176
	v_fma_f16 v193, 0xbbf7, v182, v102
	v_fmac_f16_e64 v102, 0x3bf7, v182
	s_delay_alu instid0(VALU_DEP_4)
	v_add_f16_e32 v67, v67, v98
	v_fma_f16 v98, v129, 0x3722, -v99
	v_add_f16_e64 v99, v211, v122
	v_add_f16_e64 v47, v193, v47
	v_mul_f16_e64 v193, 0xbbb2, v195
	v_add_f16_e32 v67, v94, v67
	v_fma_f16 v94, v133, 0x39e9, -v228
	v_add_f16_e32 v96, v98, v96
	v_mul_f16_e32 v98, 0xb8d2, v123
	v_fma_f16 v194, 0xb461, v131, v193
	v_add_f16_e32 v67, v73, v67
	v_fma_f16 v73, v131, 0xb461, -v193
	v_add_f16_e32 v97, v102, v97
	v_sub_f16_e64 v98, v98, v167
	v_add_f16_e64 v176, v194, v176
	v_add_f16_e64 v67, v208, v67
	v_add_f16_e32 v73, v73, v96
	v_mul_f16_e32 v96, 0x2de8, v23
	v_fma_f16 v194, 0x2de8, v133, v103
	s_delay_alu instid0(VALU_DEP_4)
	v_add_f16_e32 v67, v82, v67
	v_fma_f16 v82, v129, 0xbbdd, -v92
	v_fma_f16 v92, v125, 0x3b76, -v219
	v_add_f16_e64 v96, v177, v96
	v_add_f16_e64 v176, v194, v176
	v_add_f16_e32 v67, v87, v67
	v_add_f16_e32 v75, v82, v75
	v_fma_f16 v82, v131, 0x39e9, -v95
	v_fma_f16 v87, v131, 0xbbdd, -v209
	v_mul_f16_e32 v95, 0xbbdd, v123
	v_add_f16_e32 v67, v91, v67
	v_fma_f16 v91, v123, 0xb461, -v217
	v_add_f16_e32 v75, v82, v75
	v_fma_f16 v82, v123, 0x3b76, -v249
	v_sub_f16_e64 v95, v95, v185
	v_mov_b32_e32 v249, v142
	s_delay_alu instid0(VALU_DEP_4) | instskip(SKIP_3) | instid1(VALU_DEP_3)
	v_add_f16_e32 v49, v49, v75
	v_add_f16_e64 v75, v248, v79
	v_fma_f16 v79, v21, 0xb461, -v247
	v_dual_mov_b32 v248, v140 :: v_dual_mov_b32 v247, v139
	v_add_f16_e64 v75, v250, v75
	s_delay_alu instid0(VALU_DEP_3) | instskip(SKIP_1) | instid1(VALU_DEP_3)
	v_add_f16_e64 v79, v79, v199
	v_mov_b32_e32 v250, v143
	v_add_f16_e64 v75, v252, v75
	s_delay_alu instid0(VALU_DEP_3) | instskip(SKIP_1) | instid1(VALU_DEP_3)
	v_add_f16_e32 v79, v82, v79
	v_add_f16_e64 v82, v42, v225
	v_add_f16_e64 v75, v254, v75
	s_delay_alu instid0(VALU_DEP_3) | instskip(SKIP_1) | instid1(VALU_DEP_4)
	v_add_f16_e32 v79, v83, v79
	v_fma_f16 v83, v127, 0x2de8, -v253
	v_add_f16_e64 v82, v227, v82
	s_delay_alu instid0(VALU_DEP_2) | instskip(SKIP_1) | instid1(VALU_DEP_3)
	v_add_f16_e32 v79, v83, v79
	v_fma_f16 v83, v129, 0x39e9, -v255
	v_add_f16_e64 v82, v229, v82
	s_delay_alu instid0(VALU_DEP_2) | instskip(SKIP_1) | instid1(VALU_DEP_3)
	v_add_f16_e32 v79, v83, v79
	v_fma_f16 v83, v21, 0xbacd, -v231
	v_add_f16_e64 v82, v230, v82
	s_delay_alu instid0(VALU_DEP_3) | instskip(NEXT) | instid1(VALU_DEP_3)
	v_add_f16_e32 v79, v87, v79
	v_add_f16_e64 v83, v83, v206
	v_fma_f16 v87, v123, 0x39e9, -v233
	s_delay_alu instid0(VALU_DEP_4) | instskip(NEXT) | instid1(VALU_DEP_4)
	v_add_f16_e64 v82, v232, v82
	v_add_f16_e32 v69, v69, v79
	v_fma_f16 v79, v125, 0x3722, -v235
	s_delay_alu instid0(VALU_DEP_4) | instskip(SKIP_2) | instid1(VALU_DEP_3)
	v_add_f16_e32 v83, v87, v83
	v_fma_f16 v87, v129, 0x2de8, -v239
	v_add_f16_e64 v82, v234, v82
	v_add_f16_e32 v79, v79, v83
	v_fma_f16 v83, v127, 0xbbdd, -v237
	s_delay_alu instid0(VALU_DEP_3) | instskip(NEXT) | instid1(VALU_DEP_2)
	v_add_f16_e64 v82, v236, v82
	v_add_f16_e32 v79, v83, v79
	v_add_f16_e64 v83, v42, v212
	s_delay_alu instid0(VALU_DEP_3) | instskip(NEXT) | instid1(VALU_DEP_3)
	v_add_f16_e64 v82, v238, v82
	v_add_f16_e32 v79, v87, v79
	v_fma_f16 v87, v131, 0x3b76, -v240
	s_delay_alu instid0(VALU_DEP_4) | instskip(NEXT) | instid1(VALU_DEP_2)
	v_add_f16_e64 v83, v213, v83
	v_add_f16_e32 v79, v87, v79
	v_fma_f16 v87, v21, 0xbbdd, -v216
	s_delay_alu instid0(VALU_DEP_3) | instskip(NEXT) | instid1(VALU_DEP_3)
	v_add_f16_e64 v83, v214, v83
	v_add_f16_e32 v79, v88, v79
	s_delay_alu instid0(VALU_DEP_3) | instskip(SKIP_1) | instid1(VALU_DEP_4)
	v_add_f16_e64 v87, v87, v204
	v_mul_f16_e32 v88, 0x3722, v20
	v_add_f16_e64 v83, v215, v83
	s_delay_alu instid0(VALU_DEP_3) | instskip(NEXT) | instid1(VALU_DEP_3)
	v_add_f16_e32 v87, v91, v87
	v_add_f16_e64 v88, v152, v88
	v_mul_f16_e32 v91, 0xb8d2, v23
	v_mul_f16_e32 v23, 0x39e9, v23
	v_add_f16_e64 v83, v200, v83
	v_add_f16_e32 v87, v92, v87
	v_add_f16_e32 v88, v42, v88
	v_add_f16_e64 v91, v150, v91
	v_fma_f16 v92, v127, 0x3722, -v221
	v_add_f16_e64 v23, v160, v23
	v_add_f16_e64 v83, v218, v83
	s_delay_alu instid0(VALU_DEP_4) | instskip(SKIP_4) | instid1(VALU_DEP_4)
	v_add_f16_e32 v88, v91, v88
	v_mul_f16_e32 v91, 0xbbdd, v124
	v_add_f16_e32 v87, v92, v87
	v_fma_f16 v92, v129, 0xbacd, -v223
	v_add_f16_e64 v83, v220, v83
	v_add_f16_e64 v91, v149, v91
	s_delay_alu instid0(VALU_DEP_3) | instskip(SKIP_1) | instid1(VALU_DEP_4)
	v_add_f16_e32 v87, v92, v87
	v_fma_f16 v92, v131, 0xb8d2, -v224
	v_add_f16_e64 v83, v222, v83
	s_delay_alu instid0(VALU_DEP_4) | instskip(SKIP_1) | instid1(VALU_DEP_4)
	v_add_f16_e32 v88, v91, v88
	v_mul_f16_e32 v91, 0xb461, v126
	v_add_f16_e32 v87, v92, v87
	v_mul_f16_e32 v92, 0xb8d2, v21
	s_delay_alu instid0(VALU_DEP_3) | instskip(NEXT) | instid1(VALU_DEP_3)
	v_add_f16_e32 v91, v81, v91
	v_add_f16_e32 v87, v94, v87
	v_mul_f16_e32 v94, 0x39e9, v20
	v_mul_f16_e32 v20, 0x3b76, v20
	s_delay_alu instid0(VALU_DEP_4) | instskip(SKIP_4) | instid1(VALU_DEP_4)
	v_add_f16_e32 v88, v91, v88
	v_mul_f16_e64 v91, 0x39e9, v128
	v_sub_f16_e64 v92, v92, v186
	v_add_f16_e64 v94, v178, v94
	v_add_f16_e64 v20, v161, v20
	v_add_f16_e64 v91, v148, v91
	s_delay_alu instid0(VALU_DEP_4) | instskip(NEXT) | instid1(VALU_DEP_4)
	v_add_f16_e64 v92, v92, v202
	v_add_f16_e32 v94, v42, v94
	s_delay_alu instid0(VALU_DEP_4) | instskip(NEXT) | instid1(VALU_DEP_4)
	v_add_f16_e32 v20, v42, v20
	v_add_f16_e32 v88, v91, v88
	v_mul_f16_e64 v91, 0x3b76, v130
	s_delay_alu instid0(VALU_DEP_4)
	v_add_f16_e32 v94, v96, v94
	v_mul_f16_e32 v96, 0xb8d2, v124
	v_add_f16_e32 v20, v23, v20
	v_add_f16_e32 v23, v59, v58
	v_add_f16_e32 v91, v80, v91
	v_add_f16_e32 v92, v95, v92
	v_add_f16_e64 v96, v175, v96
	v_mul_f16_e32 v95, 0xb461, v125
	v_add_f16_e32 v23, v23, v57
	v_add_f16_e32 v88, v91, v88
	v_mul_f16_e64 v91, 0x2de8, v134
	v_mul_f16_e32 v58, 0x3722, v124
	v_sub_f16_e64 v95, v95, v184
	v_add_f16_e32 v23, v23, v56
	s_delay_alu instid0(VALU_DEP_4) | instskip(NEXT) | instid1(VALU_DEP_4)
	v_add_f16_e64 v91, v147, v91
	v_add_f16_e64 v58, v159, v58
	s_delay_alu instid0(VALU_DEP_4) | instskip(NEXT) | instid1(VALU_DEP_4)
	v_add_f16_e32 v92, v95, v92
	v_add_f16_e32 v23, v23, v55
	v_mul_f16_e32 v95, 0x39e9, v127
	v_add_f16_e32 v88, v91, v88
	v_mul_f16_e64 v91, 0xbacd, v136
	v_add_f16_e32 v20, v58, v20
	v_add_f16_e32 v23, v23, v54
	v_sub_f16_e64 v95, v95, v181
	s_delay_alu instid0(VALU_DEP_4) | instskip(NEXT) | instid1(VALU_DEP_3)
	v_add_f16_e64 v91, v151, v91
	v_add_f16_e32 v23, v23, v53
	s_delay_alu instid0(VALU_DEP_3) | instskip(SKIP_1) | instid1(VALU_DEP_4)
	v_add_f16_e32 v92, v95, v92
	v_mul_f16_e64 v95, 0x3b76, v129
	v_add_f16_e32 v88, v91, v88
	v_add_f16_e32 v91, v96, v94
	v_mul_f16_e32 v94, 0xbbdd, v126
	v_mul_f16_e32 v96, 0x2de8, v21
	;; [unrolled: 1-line block ×3, first 2 shown]
	v_add_f16_e32 v23, v23, v52
	v_sub_f16_e64 v95, v95, v180
	v_add_f16_e64 v94, v174, v94
	v_sub_f16_e64 v96, v96, v168
	v_sub_f16_e64 v21, v21, v146
	v_add_f16_e32 v23, v23, v51
	v_add_f16_e32 v92, v95, v92
	;; [unrolled: 1-line block ×3, first 2 shown]
	v_mul_f16_e64 v94, 0xbacd, v128
	v_add_f16_e64 v96, v96, v201
	v_add_f16_e64 v21, v21, v198
	v_mul_f16_e64 v95, 0x2de8, v131
	v_mov_b32_e32 v146, v145
	v_add_f16_e64 v94, v173, v94
	v_add_f16_e32 v96, v98, v96
	v_mul_f16_e32 v98, 0xbbdd, v125
	v_sub_f16_e64 v95, v95, v179
	v_mov_b32_e32 v145, v16
	v_add_f16_e32 v91, v94, v91
	v_mul_f16_e64 v94, 0xb461, v130
	v_sub_f16_e64 v98, v98, v165
	v_add_f16_e32 v92, v95, v92
	v_mul_f16_e64 v95, 0xbacd, v133
	v_pack_b32_f16 v16, v86, v85
	v_add_f16_e64 v94, v172, v94
	v_add_f16_e32 v96, v98, v96
	v_mul_f16_e32 v98, 0xbacd, v127
	v_sub_f16_e64 v95, v95, v183
	s_delay_alu instid0(VALU_DEP_4) | instskip(SKIP_1) | instid1(VALU_DEP_4)
	v_add_f16_e32 v91, v94, v91
	v_mul_f16_e64 v94, 0x3722, v134
	v_sub_f16_e64 v98, v98, v166
	s_delay_alu instid0(VALU_DEP_2) | instskip(NEXT) | instid1(VALU_DEP_1)
	v_add_f16_e64 v94, v170, v94
	v_add_f16_e32 v91, v94, v91
	s_delay_alu instid0(VALU_DEP_3) | instskip(SKIP_2) | instid1(VALU_DEP_2)
	v_add_f16_e32 v94, v98, v96
	v_add_f16_e32 v96, v99, v121
	v_mul_f16_e64 v98, 0xb461, v129
	v_add_f16_e32 v62, v96, v120
	s_delay_alu instid0(VALU_DEP_2) | instskip(SKIP_1) | instid1(VALU_DEP_3)
	v_sub_f16_e64 v98, v98, v164
	v_mul_f16_e64 v96, 0x3b76, v136
	v_add_f16_e32 v42, v62, v118
	s_delay_alu instid0(VALU_DEP_3) | instskip(NEXT) | instid1(VALU_DEP_3)
	v_add_f16_e32 v94, v98, v94
	v_add_f16_e64 v96, v169, v96
	s_delay_alu instid0(VALU_DEP_3) | instskip(NEXT) | instid1(VALU_DEP_1)
	v_add_f16_e32 v42, v42, v119
	v_add_f16_e32 v32, v42, v32
	v_mul_f16_e32 v42, 0x2de8, v126
	s_delay_alu instid0(VALU_DEP_2) | instskip(SKIP_1) | instid1(VALU_DEP_3)
	v_add_f16_e32 v31, v32, v31
	v_mul_f16_e32 v32, 0x3722, v123
	v_add_f16_e64 v42, v158, v42
	s_delay_alu instid0(VALU_DEP_3) | instskip(NEXT) | instid1(VALU_DEP_3)
	v_add_f16_e32 v27, v31, v27
	v_sub_f16_e32 v32, v32, v72
	v_mul_f16_e64 v31, 0xb461, v128
	s_delay_alu instid0(VALU_DEP_4) | instskip(NEXT) | instid1(VALU_DEP_4)
	v_add_f16_e32 v20, v42, v20
	v_add_f16_e32 v26, v27, v26
	s_delay_alu instid0(VALU_DEP_4) | instskip(NEXT) | instid1(VALU_DEP_4)
	v_add_f16_e32 v21, v32, v21
	v_add_f16_e64 v31, v156, v31
	v_mul_f16_e32 v32, 0x2de8, v125
	v_mul_f16_e64 v27, 0xb8d2, v130
	v_add_f16_e32 v25, v26, v25
	v_mul_f16_e32 v26, 0xb461, v127
	v_add_f16_e32 v20, v31, v20
	v_sub_f16_e64 v32, v32, v191
	v_add_f16_e32 v27, v76, v27
	v_add_f16_e32 v24, v25, v24
	v_sub_f16_e64 v26, v26, v188
	v_mul_f16_e64 v25, 0xb8d2, v129
	v_add_f16_e32 v21, v32, v21
	v_add_f16_e32 v20, v27, v20
	;; [unrolled: 1-line block ×3, first 2 shown]
	v_mul_f16_e64 v27, 0xbacd, v134
	v_sub_f16_e64 v25, v25, v189
	v_add_f16_e32 v21, v26, v21
	v_mul_f16_e64 v24, 0xbacd, v131
	v_add_f16_e32 v19, v22, v19
	v_add_f16_e64 v27, v153, v27
	v_add_f16_e32 v22, v23, v50
	v_mul_f16_e64 v23, 0xbbdd, v136
	v_add_f16_e32 v21, v25, v21
	v_add_f16_e32 v18, v19, v18
	;; [unrolled: 1-line block ×3, first 2 shown]
	v_sub_f16_e32 v24, v24, v68
	v_add_f16_e64 v23, v196, v23
	v_add_f16_e32 v19, v22, v48
	v_mul_f16_e64 v22, 0xbbdd, v133
	v_add_f16_e32 v17, v18, v17
	v_lshrrev_b32_e32 v18, 1, v84
	v_mul_f16_e64 v25, 0x3b76, v133
	v_add_f16_e32 v21, v24, v21
	v_sub_f16_e64 v22, v22, v154
	v_add_f16_e32 v20, v23, v20
	v_mul_u32_u24_e32 v18, 34, v18
	v_and_b32_e32 v23, 1, v84
	v_add_f16_e32 v26, v60, v94
	v_sub_f16_e64 v25, v25, v187
	v_fma_f16 v24, v133, 0x2de8, -v103
	v_add_f16_e32 v19, v19, v46
	v_add_f16_e32 v21, v22, v21
	v_or_b32_e32 v18, v18, v23
	v_add_f16_e32 v22, v96, v91
	v_add_f16_e32 v23, v25, v26
	;; [unrolled: 1-line block ×3, first 2 shown]
	v_pack_b32_f16 v17, v17, v19
	v_pack_b32_f16 v19, v21, v20
	v_lshl_add_u32 v18, v18, 2, v93
	v_add_f16_e32 v24, v24, v73
	v_pack_b32_f16 v20, v23, v22
	v_pack_b32_f16 v21, v25, v88
	;; [unrolled: 1-line block ×6, first 2 shown]
	ds_store_2addr_b32 v18, v17, v19 offset1:2
	ds_store_2addr_b32 v18, v20, v21 offset0:4 offset1:6
	ds_store_2addr_b32 v18, v22, v23 offset0:8 offset1:10
	;; [unrolled: 1-line block ×3, first 2 shown]
	v_pack_b32_f16 v17, v24, v97
	v_pack_b32_f16 v19, v176, v47
	;; [unrolled: 1-line block ×5, first 2 shown]
	v_perm_b32 v23, v34, v33, 0x5040100
	v_perm_b32 v24, v45, v44, 0x5040100
	;; [unrolled: 1-line block ×3, first 2 shown]
	ds_store_2addr_b32 v18, v17, v19 offset0:16 offset1:18
	ds_store_2addr_b32 v18, v20, v21 offset0:20 offset1:22
	ds_store_2addr_b32 v18, v22, v16 offset0:24 offset1:26
	ds_store_2addr_b32 v18, v23, v24 offset0:28 offset1:30
	ds_store_b32 v18, v25 offset:128
.LBB0_11:
	s_wait_alu 0xfffe
	s_or_b32 exec_lo, exec_lo, s1
	v_add_nc_u32_e32 v20, 0x400, v63
	v_add_nc_u32_e32 v21, 0x800, v63
	v_add_nc_u32_e32 v24, 0xa00, v63
	v_add_nc_u32_e32 v25, 0xc00, v63
	global_wb scope:SCOPE_SE
	s_wait_dscnt 0x0
	s_barrier_signal -1
	s_barrier_wait -1
	global_inv scope:SCOPE_SE
	ds_load_2addr_b32 v[18:19], v63 offset1:68
	ds_load_2addr_b32 v[16:17], v20 offset0:152 offset1:254
	ds_load_2addr_b32 v[31:32], v21 offset0:66 offset1:134
	ds_load_2addr_b32 v[22:23], v63 offset0:136 offset1:204
	ds_load_2addr_b32 v[26:27], v24 offset0:74 offset1:142
	ds_load_2addr_b32 v[20:21], v20 offset0:16 offset1:84
	ds_load_2addr_b32 v[24:25], v25 offset0:82 offset1:150
	v_lshlrev_b32_e32 v42, 1, v84
	s_and_saveexec_b32 s1, vcc_lo
	s_cbranch_execz .LBB0_13
; %bb.12:
	ds_load_b32 v33, v63 offset:1904
	ds_load_b32 v44, v63 offset:3944
	s_wait_dscnt 0x1
	v_lshrrev_b32_e32 v34, 16, v33
	s_wait_dscnt 0x0
	v_lshrrev_b32_e32 v45, 16, v44
.LBB0_13:
	s_wait_alu 0xfffe
	s_or_b32 exec_lo, exec_lo, s1
	v_and_b32_e32 v47, 0xff, v40
	v_add_co_u32 v49, s1, 0xffffffde, v84
	v_and_b32_e32 v46, 0xff, v39
	s_wait_alu 0xf1ff
	v_add_co_ci_u32_e64 v50, null, 0, -1, s1
	s_delay_alu instid0(VALU_DEP_3) | instskip(SKIP_2) | instid1(VALU_DEP_4)
	v_cndmask_b32_e32 v51, v49, v84, vcc_lo
	v_mul_lo_u16 v47, 0xf1, v47
	v_mul_lo_u16 v48, 0xf1, v46
	v_cndmask_b32_e64 v52, v50, 0, vcc_lo
	v_and_b32_e32 v55, 0xffff, v35
	v_and_b32_e32 v56, 0xffff, v36
	v_lshrrev_b16 v47, 13, v47
	v_lshrrev_b16 v48, 13, v48
	v_and_b32_e32 v49, 0xffff, v37
	v_and_b32_e32 v57, 0xffff, v38
	;; [unrolled: 1-line block ×3, first 2 shown]
	v_mul_lo_u16 v50, v47, 34
	v_mul_lo_u16 v53, v48, 34
	v_mul_u32_u24_e32 v49, 0xf0f1, v49
	v_and_b32_e32 v47, 0xffff, v47
	v_mul_u32_u24_e32 v59, 0xf0f1, v59
	v_sub_nc_u16 v50, v40, v50
	v_sub_nc_u16 v58, v39, v53
	v_lshlrev_b64_e32 v[53:54], 2, v[51:52]
	v_mul_u32_u24_e32 v52, 0xf0f1, v55
	v_lshrrev_b32_e32 v49, 21, v49
	v_and_b32_e32 v55, 0xff, v50
	v_mul_u32_u24_e32 v50, 0xf0f1, v56
	v_mul_u32_u24_e32 v56, 0xf0f1, v57
	v_add_co_u32 v53, s1, s2, v53
	v_lshrrev_b32_e32 v57, 21, v52
	s_delay_alu instid0(VALU_DEP_4)
	v_lshrrev_b32_e32 v62, 21, v50
	s_wait_alu 0xf1ff
	v_add_co_ci_u32_e64 v54, s1, s3, v54, s1
	v_lshrrev_b32_e32 v56, 21, v56
	v_lshrrev_b32_e32 v59, 21, v59
	v_mul_lo_u16 v65, v57, 34
	v_mul_lo_u16 v67, v62, 34
	v_mul_lo_u16 v69, v49, 34
	global_load_b32 v125, v[53:54], off offset:128
	v_mul_lo_u16 v71, v56, 34
	v_mul_lo_u16 v59, v59, 34
	v_sub_nc_u16 v65, v35, v65
	v_sub_nc_u16 v67, v36, v67
	;; [unrolled: 1-line block ×5, first 2 shown]
	v_and_b32_e32 v58, 0xff, v58
	v_and_b32_e32 v53, 0xffff, v65
	;; [unrolled: 1-line block ×4, first 2 shown]
	v_lshlrev_b32_e32 v60, 2, v55
	v_and_b32_e32 v69, 0xffff, v38
	v_and_b32_e32 v128, 0xffff, v41
	v_lshlrev_b32_e32 v61, 2, v58
	v_lshlrev_b32_e32 v41, 2, v53
	;; [unrolled: 1-line block ×6, first 2 shown]
	s_clause 0x6
	global_load_b32 v126, v60, s[2:3] offset:128
	global_load_b32 v124, v61, s[2:3] offset:128
	;; [unrolled: 1-line block ×7, first 2 shown]
	v_and_b32_e32 v48, 0xffff, v48
	v_cmp_lt_u16_e64 s1, 33, v84
	v_mul_u32_u24_e32 v47, 0x44, v47
	s_wait_dscnt 0x5
	v_lshrrev_b32_e32 v53, 16, v17
	v_mad_u16 v37, 0x44, v49, v37
	v_mul_u32_u24_e32 v48, 0x44, v48
	s_wait_alu 0xf1ff
	v_cndmask_b32_e64 v73, 0, 0x44, s1
	v_add_nc_u32_e32 v47, v47, v55
	v_mad_u16 v38, 0x44, v56, v38
	v_lshrrev_b32_e32 v41, 16, v18
	v_add_nc_u32_e32 v48, v48, v58
	v_add_nc_u32_e32 v51, v51, v73
	v_lshl_add_u32 v133, v47, 2, v93
	s_wait_dscnt 0x4
	v_lshrrev_b32_e32 v59, 16, v31
	v_and_b32_e32 v37, 0xffff, v37
	v_lshl_add_u32 v117, v48, 2, v93
	v_lshl_add_u32 v129, v51, 2, v93
	v_mad_u16 v51, 0x44, v57, v65
	v_mad_u16 v57, 0x44, v62, v67
	v_and_b32_e32 v38, 0xffff, v38
	v_lshrrev_b32_e32 v61, 16, v32
	s_wait_dscnt 0x2
	v_lshrrev_b32_e32 v71, 16, v26
	v_and_b32_e32 v49, 0xffff, v51
	v_and_b32_e32 v51, 0xffff, v57
	v_lshrrev_b32_e32 v78, 16, v27
	s_wait_dscnt 0x0
	v_lshrrev_b32_e32 v82, 16, v24
	v_lshrrev_b32_e32 v83, 16, v25
	v_lshl_add_u32 v131, v37, 2, v93
	v_lshl_add_u32 v132, v38, 2, v93
	;; [unrolled: 1-line block ×4, first 2 shown]
	v_lshrrev_b32_e32 v54, 16, v19
	v_lshrrev_b32_e32 v60, 16, v22
	;; [unrolled: 1-line block ×6, first 2 shown]
	global_wb scope:SCOPE_SE
	s_wait_loadcnt 0x0
	s_barrier_signal -1
	s_barrier_wait -1
	global_inv scope:SCOPE_SE
	v_lshrrev_b32_e32 v142, 16, v125
	s_delay_alu instid0(VALU_DEP_1) | instskip(SKIP_1) | instid1(VALU_DEP_2)
	v_mul_f16_e64 v47, v53, v142
	v_mul_f16_e64 v48, v17, v142
	v_fma_f16 v17, v17, v125, -v47
	s_delay_alu instid0(VALU_DEP_2)
	v_fmac_f16_e32 v48, v53, v125
	v_lshrrev_b32_e32 v143, 16, v126
	v_lshrrev_b32_e32 v141, 16, v124
	;; [unrolled: 1-line block ×6, first 2 shown]
	v_sub_f16_e32 v17, v18, v17
	v_sub_f16_e32 v37, v41, v48
	v_mul_f16_e64 v38, v59, v143
	v_mul_f16_e64 v47, v31, v143
	;; [unrolled: 1-line block ×4, first 2 shown]
	v_lshrrev_b32_e32 v130, 16, v90
	v_mul_f16_e64 v51, v71, v140
	v_mul_f16_e64 v53, v26, v140
	;; [unrolled: 1-line block ×8, first 2 shown]
	v_fma_f16 v18, v18, 2.0, -v17
	v_fma_f16 v41, v41, 2.0, -v37
	v_fma_f16 v31, v31, v126, -v38
	v_fmac_f16_e32 v47, v59, v126
	v_fma_f16 v32, v32, v124, -v48
	v_fmac_f16_e32 v49, v61, v124
	v_mul_f16_e64 v67, v45, v130
	v_fma_f16 v26, v26, v122, -v51
	v_fmac_f16_e32 v53, v71, v122
	v_mul_f16_e64 v87, v44, v130
	v_fma_f16 v27, v27, v121, -v55
	v_fmac_f16_e32 v56, v78, v121
	v_fma_f16 v24, v24, v120, -v57
	v_fmac_f16_e32 v58, v82, v120
	v_pack_b32_f16 v17, v17, v37
	v_fma_f16 v25, v25, v119, -v62
	v_fmac_f16_e32 v65, v83, v119
	v_pack_b32_f16 v18, v18, v41
	v_sub_f16_e32 v31, v19, v31
	v_sub_f16_e32 v38, v54, v47
	;; [unrolled: 1-line block ×4, first 2 shown]
	v_fma_f16 v37, v44, v90, -v67
	v_sub_f16_e32 v26, v23, v26
	v_sub_f16_e32 v44, v69, v53
	v_fmac_f16_e32 v87, v45, v90
	v_sub_f16_e32 v27, v20, v27
	v_sub_f16_e32 v45, v75, v56
	;; [unrolled: 1-line block ×6, first 2 shown]
	ds_store_2addr_b32 v129, v18, v17 offset1:34
	v_fma_f16 v17, v19, 2.0, -v31
	v_fma_f16 v18, v54, 2.0, -v38
	;; [unrolled: 1-line block ×4, first 2 shown]
	v_sub_f16_e32 v48, v33, v37
	v_fma_f16 v23, v23, 2.0, -v26
	v_fma_f16 v37, v69, 2.0, -v44
	;; [unrolled: 1-line block ×6, first 2 shown]
	v_sub_f16_e32 v51, v34, v87
	v_fma_f16 v16, v16, 2.0, -v25
	v_fma_f16 v55, v73, 2.0, -v49
	v_pack_b32_f16 v31, v31, v38
	v_pack_b32_f16 v17, v17, v18
	v_pack_b32_f16 v32, v32, v41
	v_pack_b32_f16 v18, v19, v22
	v_pack_b32_f16 v26, v26, v44
	v_pack_b32_f16 v19, v23, v37
	v_pack_b32_f16 v27, v27, v45
	v_pack_b32_f16 v20, v20, v53
	v_pack_b32_f16 v24, v24, v47
	v_pack_b32_f16 v21, v21, v54
	v_pack_b32_f16 v25, v25, v49
	v_pack_b32_f16 v16, v16, v55
	ds_store_2addr_b32 v133, v17, v31 offset1:34
	ds_store_2addr_b32 v117, v18, v32 offset1:34
	;; [unrolled: 1-line block ×6, first 2 shown]
	s_and_saveexec_b32 s1, vcc_lo
	s_cbranch_execz .LBB0_15
; %bb.14:
	v_fma_f16 v16, v33, 2.0, -v48
	v_fma_f16 v17, v34, 2.0, -v51
	v_lshl_add_u32 v18, v128, 2, v93
	v_perm_b32 v19, v51, v48, 0x5040100
	s_delay_alu instid0(VALU_DEP_3) | instskip(NEXT) | instid1(VALU_DEP_3)
	v_pack_b32_f16 v16, v16, v17
	v_add_nc_u32_e32 v17, 0xc00, v18
	ds_store_2addr_b32 v17, v16, v19 offset0:184 offset1:218
.LBB0_15:
	s_wait_alu 0xfffe
	s_or_b32 exec_lo, exec_lo, s1
	v_lshlrev_b32_e32 v16, 2, v42
	global_wb scope:SCOPE_SE
	s_wait_dscnt 0x0
	s_barrier_signal -1
	s_barrier_wait -1
	global_inv scope:SCOPE_SE
	global_load_b64 v[31:32], v16, s[2:3] offset:264
	v_mul_lo_u16 v16, 0x79, v46
	v_lshrrev_b32_e32 v17, 22, v52
	v_lshrrev_b32_e32 v18, 22, v50
	v_add_nc_u32_e32 v50, 0x400, v63
	v_add_nc_u32_e32 v45, 0x800, v63
	v_lshrrev_b16 v16, 13, v16
	v_mul_lo_u16 v17, 0x44, v17
	v_mul_lo_u16 v18, 0x44, v18
	v_add_nc_u32_e32 v52, 0xc00, v63
	v_lshlrev_b32_e32 v53, 4, v84
	v_mul_lo_u16 v16, 0x44, v16
	v_sub_nc_u16 v44, v35, v17
	v_sub_nc_u16 v46, v36, v18
	v_lshlrev_b32_e32 v40, 4, v40
	v_lshl_add_u32 v137, v84, 2, v93
	v_sub_nc_u16 v16, v39, v16
	v_lshlrev_b16 v17, 3, v44
	v_lshlrev_b16 v18, 3, v46
	v_and_b32_e32 v44, 0xffff, v44
	v_and_b32_e32 v46, 0xffff, v46
	;; [unrolled: 1-line block ×5, first 2 shown]
	v_lshl_add_u32 v138, v44, 2, v93
	v_lshl_add_u32 v139, v46, 2, v93
	v_lshlrev_b32_e32 v20, 3, v47
	v_add_co_u32 v16, s1, s2, v16
	s_wait_alu 0xf1ff
	v_add_co_ci_u32_e64 v17, null, s3, 0, s1
	v_add_co_u32 v18, s1, s2, v18
	s_wait_alu 0xf1ff
	v_add_co_ci_u32_e64 v19, null, s3, 0, s1
	s_clause 0x2
	global_load_b64 v[37:38], v20, s[2:3] offset:264
	global_load_b64 v[35:36], v[16:17], off offset:264
	global_load_b64 v[33:34], v[18:19], off offset:264
	ds_load_2addr_b32 v[16:17], v63 offset1:68
	ds_load_2addr_b32 v[18:19], v63 offset0:136 offset1:204
	ds_load_b32 v49, v63 offset:3808
	ds_load_2addr_b32 v[20:21], v50 offset0:16 offset1:84
	ds_load_2addr_b32 v[22:23], v45 offset0:168 offset1:236
	;; [unrolled: 1-line block ×5, first 2 shown]
	global_wb scope:SCOPE_SE
	s_wait_loadcnt_dscnt 0x0
	s_barrier_signal -1
	s_barrier_wait -1
	global_inv scope:SCOPE_SE
	v_lshl_add_u32 v144, v47, 2, v93
	v_add_nc_u32_e32 v47, 0x800, v138
	v_add_nc_u32_e32 v73, 0xc00, v139
	s_delay_alu instid0(VALU_DEP_3)
	v_add_nc_u32_e32 v75, 0x400, v144
	v_lshrrev_b32_e32 v44, 16, v21
	v_lshrrev_b32_e32 v46, 16, v22
	;; [unrolled: 1-line block ×17, first 2 shown]
	s_delay_alu instid0(VALU_DEP_2) | instskip(SKIP_1) | instid1(VALU_DEP_3)
	v_mul_f16_e64 v78, v44, v149
	v_mul_f16_e64 v79, v21, v149
	;; [unrolled: 1-line block ×8, first 2 shown]
	v_fma_f16 v21, v21, v31, -v78
	v_fmac_f16_e32 v79, v44, v31
	v_fma_f16 v22, v22, v32, -v82
	v_fmac_f16_e32 v83, v46, v32
	v_fma_f16 v24, v24, v31, -v87
	v_fmac_f16_e32 v88, v59, v31
	v_fmac_f16_e32 v92, v60, v32
	v_fma_f16 v23, v23, v32, -v91
	v_add_f16_e32 v44, v16, v21
	v_add_f16_e32 v46, v21, v22
	v_sub_f16_e32 v59, v79, v83
	v_add_f16_e32 v60, v54, v79
	v_add_f16_e32 v78, v79, v83
	;; [unrolled: 1-line block ×3, first 2 shown]
	v_sub_f16_e32 v87, v88, v92
	v_add_f16_e32 v91, v55, v88
	v_add_f16_e32 v88, v88, v92
	;; [unrolled: 1-line block ×3, first 2 shown]
	v_sub_f16_e32 v21, v21, v22
	v_sub_f16_e32 v24, v24, v23
	v_add_f16_e32 v22, v44, v22
	v_fma_f16 v16, -0.5, v46, v16
	v_add_f16_e32 v44, v60, v83
	v_fmac_f16_e32 v54, -0.5, v78
	v_add_f16_e32 v23, v79, v23
	v_add_f16_e32 v46, v91, v92
	v_fmac_f16_e32 v55, -0.5, v88
	v_lshrrev_b32_e32 v154, 16, v37
	v_lshrrev_b32_e32 v153, 16, v38
	v_fmac_f16_e32 v17, -0.5, v82
	v_lshrrev_b32_e32 v152, 16, v35
	v_lshrrev_b32_e32 v151, 16, v36
	;; [unrolled: 1-line block ×4, first 2 shown]
	v_fmamk_f16 v60, v59, 0x3aee, v16
	v_fmac_f16_e32 v16, 0xbaee, v59
	v_fmamk_f16 v59, v21, 0xbaee, v54
	v_fmamk_f16 v78, v24, 0xbaee, v55
	v_fmac_f16_e32 v55, 0x3aee, v24
	v_pack_b32_f16 v22, v22, v44
	v_pack_b32_f16 v23, v23, v46
	v_mul_f16_e64 v24, v61, v154
	v_mul_f16_e64 v44, v25, v154
	;; [unrolled: 1-line block ×4, first 2 shown]
	v_fmac_f16_e32 v54, 0x3aee, v21
	v_fmamk_f16 v21, v87, 0x3aee, v17
	v_fmac_f16_e32 v17, 0xbaee, v87
	v_mul_f16_e64 v82, v65, v152
	v_mul_f16_e64 v83, v41, v152
	;; [unrolled: 1-line block ×8, first 2 shown]
	v_pack_b32_f16 v59, v60, v59
	v_fma_f16 v24, v25, v37, -v24
	v_fmac_f16_e32 v44, v61, v37
	v_fma_f16 v25, v26, v38, -v46
	v_fmac_f16_e32 v79, v62, v38
	v_pack_b32_f16 v16, v16, v54
	v_fma_f16 v26, v41, v35, -v82
	v_fmac_f16_e32 v83, v65, v35
	v_fma_f16 v27, v27, v36, -v87
	v_fmac_f16_e32 v88, v67, v36
	v_pack_b32_f16 v21, v21, v78
	v_pack_b32_f16 v17, v17, v55
	v_fma_f16 v41, v42, v33, -v91
	v_fmac_f16_e32 v92, v71, v33
	v_fma_f16 v42, v49, v34, -v94
	v_fmac_f16_e32 v95, v58, v34
	ds_store_2addr_b32 v63, v22, v59 offset1:68
	ds_store_2addr_b32 v63, v16, v23 offset0:136 offset1:204
	ds_store_2addr_b32 v50, v21, v17 offset0:16 offset1:84
	v_add_f16_e32 v17, v24, v25
	v_add_f16_e32 v23, v44, v79
	;; [unrolled: 1-line block ×7, first 2 shown]
	v_sub_f16_e32 v21, v44, v79
	v_add_f16_e32 v22, v56, v44
	v_sub_f16_e32 v24, v24, v25
	v_add_f16_e32 v58, v20, v41
	v_fma_f16 v17, -0.5, v17, v18
	v_fmac_f16_e32 v56, -0.5, v23
	v_add_f16_e32 v44, v19, v26
	v_sub_f16_e32 v49, v83, v88
	v_add_f16_e32 v54, v57, v83
	v_sub_f16_e32 v26, v26, v27
	v_fmac_f16_e32 v19, -0.5, v46
	v_fmac_f16_e32 v57, -0.5, v55
	v_sub_f16_e32 v60, v92, v95
	v_add_f16_e32 v61, v69, v92
	v_sub_f16_e32 v41, v41, v42
	v_fmac_f16_e32 v20, -0.5, v59
	v_fmac_f16_e32 v69, -0.5, v62
	v_add_f16_e32 v16, v16, v25
	v_add_f16_e32 v18, v22, v79
	;; [unrolled: 1-line block ×3, first 2 shown]
	v_fmamk_f16 v42, v21, 0x3aee, v17
	v_fmac_f16_e32 v17, 0xbaee, v21
	v_fmamk_f16 v21, v24, 0xbaee, v56
	v_add_f16_e32 v22, v44, v27
	v_add_f16_e32 v23, v54, v88
	v_fmac_f16_e32 v56, 0x3aee, v24
	v_fmamk_f16 v24, v49, 0x3aee, v19
	v_fmamk_f16 v44, v26, 0xbaee, v57
	v_add_f16_e32 v27, v61, v95
	v_fmac_f16_e32 v57, 0x3aee, v26
	v_fmamk_f16 v26, v60, 0x3aee, v20
	v_fmamk_f16 v46, v41, 0xbaee, v69
	v_fmac_f16_e32 v19, 0xbaee, v49
	v_fmac_f16_e32 v20, 0xbaee, v60
	;; [unrolled: 1-line block ×3, first 2 shown]
	v_pack_b32_f16 v16, v16, v18
	v_pack_b32_f16 v21, v42, v21
	;; [unrolled: 1-line block ×9, first 2 shown]
	ds_store_2addr_b32 v75, v16, v21 offset0:152 offset1:220
	ds_store_2addr_b32 v47, v18, v23 offset0:100 offset1:168
	;; [unrolled: 1-line block ×3, first 2 shown]
	ds_store_b32 v144, v17 offset:2176
	ds_store_b32 v138, v19 offset:2992
	;; [unrolled: 1-line block ×3, first 2 shown]
	global_wb scope:SCOPE_SE
	s_wait_dscnt 0x0
	s_barrier_signal -1
	s_barrier_wait -1
	global_inv scope:SCOPE_SE
	global_load_b128 v[24:27], v53, s[2:3] offset:808
	v_lshlrev_b32_e32 v16, 4, v39
	s_clause 0x1
	global_load_b128 v[20:23], v40, s[2:3] offset:808
	global_load_b128 v[16:19], v16, s[2:3] offset:808
	ds_load_2addr_b32 v[41:42], v63 offset1:68
	ds_load_2addr_b32 v[39:40], v63 offset0:136 offset1:204
	ds_load_2addr_b32 v[53:54], v50 offset0:152 offset1:220
	;; [unrolled: 1-line block ×6, first 2 shown]
	ds_load_b32 v44, v63 offset:3808
	v_add_nc_u32_e32 v46, 0x300, v63
	v_add_nc_u32_e32 v49, 0x900, v137
	s_add_nc_u64 s[2:3], s[16:17], 0xff0
	v_add_nc_u32_e32 v47, 0x600, v63
	s_wait_dscnt 0x7
	v_lshrrev_b32_e32 v65, 16, v41
	s_wait_dscnt 0x6
	v_lshrrev_b32_e32 v67, 16, v40
	;; [unrolled: 2-line block ×6, first 2 shown]
	v_lshrrev_b32_e32 v79, 16, v54
	s_wait_dscnt 0x1
	v_lshrrev_b32_e32 v82, 16, v61
	v_lshrrev_b32_e32 v83, 16, v58
	;; [unrolled: 1-line block ×5, first 2 shown]
	s_wait_dscnt 0x0
	v_lshrrev_b32_e32 v94, 16, v44
	v_lshrrev_b32_e32 v75, 16, v42
	v_lshrrev_b32_e32 v87, 16, v39
	s_wait_loadcnt 0x2
	v_lshrrev_b32_e32 v166, 16, v24
	v_lshrrev_b32_e32 v165, 16, v25
	v_lshrrev_b32_e32 v164, 16, v26
	v_lshrrev_b32_e32 v163, 16, v27
	s_wait_loadcnt 0x1
	v_lshrrev_b32_e32 v162, 16, v20
	;; [unrolled: 5-line block ×3, first 2 shown]
	v_lshrrev_b32_e32 v157, 16, v17
	v_lshrrev_b32_e32 v156, 16, v18
	;; [unrolled: 1-line block ×3, first 2 shown]
	v_mul_f16_e64 v95, v67, v166
	v_mul_f16_e64 v96, v40, v166
	;; [unrolled: 1-line block ×24, first 2 shown]
	v_fma_f16 v40, v40, v24, -v95
	v_fmac_f16_e32 v96, v67, v24
	v_fma_f16 v53, v53, v25, -v97
	v_fmac_f16_e32 v98, v69, v25
	;; [unrolled: 2-line block ×5, first 2 shown]
	v_fma_f16 v54, v54, v21, -v167
	v_fmac_f16_e64 v168, v79, v21
	v_fma_f16 v61, v61, v22, -v169
	v_fmac_f16_e64 v170, v82, v22
	;; [unrolled: 2-line block ×7, first 2 shown]
	v_add_f16_e32 v67, v41, v40
	v_add_f16_e32 v69, v53, v56
	v_sub_f16_e32 v78, v40, v53
	v_sub_f16_e32 v79, v57, v56
	v_add_f16_e32 v82, v40, v57
	v_sub_f16_e32 v83, v53, v40
	v_sub_f16_e32 v88, v56, v57
	v_add_f16_e32 v91, v65, v96
	v_add_f16_e32 v92, v98, v100
	;; [unrolled: 1-line block ×3, first 2 shown]
	v_sub_f16_e32 v95, v96, v98
	v_sub_f16_e32 v97, v102, v100
	v_add_f16_e32 v103, v42, v59
	v_add_f16_e64 v167, v54, v61
	v_add_f16_e64 v177, v59, v58
	;; [unrolled: 1-line block ×11, first 2 shown]
	v_sub_f16_e32 v71, v96, v102
	v_sub_f16_e32 v73, v98, v100
	;; [unrolled: 1-line block ×4, first 2 shown]
	v_sub_f16_e64 v173, v59, v54
	v_sub_f16_e64 v175, v58, v61
	v_add_f16_e32 v67, v67, v53
	v_fma_f16 v69, -0.5, v69, v41
	v_add_f16_e32 v78, v78, v79
	v_fma_f16 v41, -0.5, v82, v41
	v_add_f16_e32 v79, v83, v88
	v_add_f16_e32 v82, v91, v98
	v_fma_f16 v83, -0.5, v92, v65
	v_fmac_f16_e32 v65, -0.5, v99
	v_sub_f16_e32 v96, v98, v96
	v_sub_f16_e32 v101, v100, v102
	v_sub_f16_e64 v169, v104, v172
	v_sub_f16_e64 v171, v168, v170
	;; [unrolled: 1-line block ×4, first 2 shown]
	v_sub_f16_e32 v59, v59, v58
	v_sub_f16_e64 v184, v54, v61
	v_sub_f16_e64 v185, v104, v168
	;; [unrolled: 1-line block ×7, first 2 shown]
	v_sub_f16_e32 v60, v60, v44
	v_sub_f16_e64 v200, v55, v62
	v_add_f16_e32 v88, v95, v97
	v_add_f16_e32 v54, v103, v54
	v_fma_f16 v92, -0.5, v167, v42
	v_fmac_f16_e64 v42, -0.5, v177
	v_add_f16_e64 v97, v182, v168
	v_fma_f16 v98, -0.5, v183, v75
	v_fmac_f16_e64 v75, -0.5, v187
	v_add_f16_e64 v55, v189, v55
	;; [unrolled: 3-line block ×3, first 2 shown]
	v_fma_f16 v167, -0.5, v199, v87
	v_fmac_f16_e64 v87, -0.5, v203
	v_sub_f16_e64 v201, v174, v176
	v_sub_f16_e64 v174, v176, v174
	v_add_f16_e64 v95, v173, v175
	v_add_f16_e32 v56, v67, v56
	v_fmamk_f16 v67, v71, 0x3b9c, v69
	v_fma_f16 v175, 0xbb9c, v73, v41
	v_add_f16_e32 v82, v82, v100
	v_fmamk_f16 v100, v40, 0xbb9c, v83
	v_fma_f16 v176, 0x3b9c, v94, v65
	v_fmac_f16_e32 v69, 0xbb9c, v71
	v_fmac_f16_e32 v41, 0x3b9c, v73
	;; [unrolled: 1-line block ×4, first 2 shown]
	v_sub_f16_e64 v186, v172, v170
	v_sub_f16_e64 v188, v170, v172
	v_sub_f16_e64 v194, v44, v62
	v_sub_f16_e64 v197, v62, v44
	v_sub_f16_e64 v202, v180, v178
	v_sub_f16_e64 v204, v178, v180
	v_add_f16_e32 v91, v96, v101
	v_add_f16_e64 v96, v179, v181
	v_add_f16_e32 v54, v54, v61
	v_fma_f16 v61, 0x3b9c, v169, v92
	v_fma_f16 v177, 0xbb9c, v171, v42
	v_fmac_f16_e64 v42, 0x3b9c, v171
	v_add_f16_e64 v97, v97, v170
	v_fma_f16 v170, 0xbb9c, v59, v98
	v_fma_f16 v179, 0x3b9c, v184, v75
	v_fmac_f16_e64 v75, 0xbb9c, v184
	v_add_f16_e32 v55, v55, v62
	v_fma_f16 v62, 0x3b9c, v191, v53
	v_fmac_f16_e64 v53, 0xbb9c, v191
	v_fma_f16 v181, 0xbb9c, v192, v39
	v_add_f16_e64 v168, v168, v178
	v_fma_f16 v178, 0xbb9c, v60, v167
	v_fmac_f16_e64 v167, 0x3b9c, v60
	v_fma_f16 v182, 0x3b9c, v200, v87
	v_fmac_f16_e64 v92, 0xbb9c, v169
	v_fmac_f16_e32 v98, 0x3b9c, v59
	v_fmac_f16_e64 v39, 0x3b9c, v192
	v_fmac_f16_e64 v87, 0xbb9c, v200
	v_fmac_f16_e32 v67, 0x38b4, v73
	v_fmac_f16_e64 v175, 0x38b4, v71
	v_fmac_f16_e32 v100, 0xb8b4, v94
	;; [unrolled: 2-line block ×3, first 2 shown]
	v_fmac_f16_e32 v41, 0xb8b4, v71
	v_fmac_f16_e32 v83, 0x38b4, v94
	v_fmac_f16_e32 v65, 0x38b4, v40
	v_add_f16_e64 v99, v185, v186
	v_add_f16_e64 v101, v104, v188
	;; [unrolled: 1-line block ×6, first 2 shown]
	v_fmac_f16_e64 v61, 0x38b4, v171
	v_fmac_f16_e64 v42, 0xb8b4, v169
	;; [unrolled: 1-line block ×3, first 2 shown]
	v_fmac_f16_e32 v75, 0x38b4, v59
	v_fmac_f16_e64 v62, 0x38b4, v192
	v_fmac_f16_e64 v53, 0xb8b4, v192
	;; [unrolled: 1-line block ×6, first 2 shown]
	v_add_f16_e32 v40, v54, v58
	v_fmac_f16_e64 v92, 0xb8b4, v171
	v_fmac_f16_e64 v177, 0x38b4, v169
	v_add_f16_e64 v54, v97, v172
	v_fmac_f16_e64 v98, 0x38b4, v184
	v_fmac_f16_e64 v179, 0xb8b4, v59
	v_add_f16_e32 v44, v55, v44
	v_fmac_f16_e64 v39, 0xb8b4, v191
	v_add_f16_e64 v55, v168, v180
	v_fmac_f16_e32 v87, 0x38b4, v60
	v_fmac_f16_e32 v67, 0x34f2, v78
	v_fmac_f16_e64 v175, 0x34f2, v79
	v_fmac_f16_e32 v100, 0x34f2, v88
	v_fmac_f16_e64 v176, 0x34f2, v91
	v_add_f16_e32 v56, v56, v57
	v_add_f16_e32 v57, v82, v102
	v_fmac_f16_e32 v69, 0x34f2, v78
	v_fmac_f16_e32 v41, 0x34f2, v79
	;; [unrolled: 1-line block ×6, first 2 shown]
	v_fmac_f16_e64 v170, 0x34f2, v99
	v_fmac_f16_e32 v75, 0x34f2, v101
	v_fmac_f16_e32 v62, 0x34f2, v103
	;; [unrolled: 1-line block ×3, first 2 shown]
	v_fmac_f16_e64 v181, 0x34f2, v104
	v_fmac_f16_e64 v178, 0x34f2, v173
	;; [unrolled: 1-line block ×4, first 2 shown]
	v_fmac_f16_e32 v92, 0x34f2, v95
	v_fmac_f16_e64 v177, 0x34f2, v96
	v_fmac_f16_e32 v98, 0x34f2, v99
	v_fmac_f16_e64 v179, 0x34f2, v101
	;; [unrolled: 2-line block ×3, first 2 shown]
	v_pack_b32_f16 v40, v40, v54
	v_pack_b32_f16 v44, v44, v55
	;; [unrolled: 1-line block ×15, first 2 shown]
	ds_store_2addr_b32 v46, v54, v55 offset0:12 offset1:216
	ds_store_2addr_b32 v49, v41, v57 offset0:36 offset1:240
	ds_store_2addr_b32 v63, v56, v40 offset1:68
	ds_store_b32 v63, v44 offset:544
	ds_store_2addr_b32 v50, v58, v61 offset0:16 offset1:84
	ds_store_2addr_b32 v47, v59, v62 offset0:92 offset1:160
	;; [unrolled: 1-line block ×4, first 2 shown]
	global_wb scope:SCOPE_SE
	s_wait_dscnt 0x0
	s_barrier_signal -1
	s_barrier_wait -1
	global_inv scope:SCOPE_SE
	s_clause 0xd
	global_load_b32 v42, v[245:246], off offset:4080
	global_load_b32 v44, v43, s[2:3] offset:2040
	global_load_b32 v46, v43, s[2:3] offset:272
	global_load_b32 v47, v43, s[2:3] offset:2312
	global_load_b32 v49, v43, s[2:3] offset:544
	global_load_b32 v62, v43, s[2:3] offset:2584
	global_load_b32 v65, v43, s[2:3] offset:816
	global_load_b32 v67, v43, s[2:3] offset:2856
	global_load_b32 v69, v43, s[2:3] offset:1088
	global_load_b32 v71, v43, s[2:3] offset:3128
	global_load_b32 v73, v43, s[2:3] offset:1360
	global_load_b32 v75, v43, s[2:3] offset:3400
	global_load_b32 v78, v43, s[2:3] offset:1632
	global_load_b32 v79, v43, s[2:3] offset:3672
	ds_load_2addr_b32 v[40:41], v63 offset1:68
	ds_load_2addr_b32 v[54:55], v50 offset0:152 offset1:254
	v_add_nc_u32_e32 v39, 0xa00, v63
	ds_load_2addr_b32 v[56:57], v45 offset0:66 offset1:134
	ds_load_2addr_b32 v[58:59], v63 offset0:136 offset1:204
	;; [unrolled: 1-line block ×5, first 2 shown]
	s_wait_dscnt 0x6
	v_lshrrev_b32_e32 v82, 16, v40
	v_lshrrev_b32_e32 v87, 16, v41
	s_wait_dscnt 0x5
	v_lshrrev_b32_e32 v83, 16, v55
	s_wait_dscnt 0x4
	v_lshrrev_b32_e32 v88, 16, v56
	v_lshrrev_b32_e32 v92, 16, v57
	s_wait_dscnt 0x3
	v_lshrrev_b32_e32 v91, 16, v58
	;; [unrolled: 3-line block ×5, first 2 shown]
	v_lshrrev_b32_e32 v100, 16, v54
	v_lshrrev_b32_e32 v101, 16, v171
	s_wait_loadcnt 0xd
	v_lshrrev_b32_e32 v102, 16, v42
	s_wait_loadcnt 0xc
	;; [unrolled: 2-line block ×14, first 2 shown]
	v_lshrrev_b32_e32 v182, 16, v79
	v_mul_f16_e64 v183, v82, v102
	v_mul_f16_e32 v102, v40, v102
	v_mul_f16_e64 v185, v87, v104
	v_mul_f16_e32 v104, v41, v104
	;; [unrolled: 2-line block ×3, first 2 shown]
	v_mul_f16_e64 v186, v88, v172
	v_mul_f16_e64 v172, v56, v172
	;; [unrolled: 1-line block ×22, first 2 shown]
	v_fma_f16 v40, v40, v42, -v183
	v_fmac_f16_e32 v102, v82, v42
	v_fma_f16 v41, v41, v46, -v185
	v_fmac_f16_e32 v104, v87, v46
	;; [unrolled: 2-line block ×3, first 2 shown]
	v_fma_f16 v44, v56, v47, -v186
	v_fmac_f16_e64 v172, v88, v47
	v_fma_f16 v47, v57, v62, -v188
	v_fmac_f16_e64 v174, v92, v62
	;; [unrolled: 2-line block ×11, first 2 shown]
	v_pack_b32_f16 v40, v40, v102
	v_pack_b32_f16 v41, v41, v104
	;; [unrolled: 1-line block ×14, first 2 shown]
	ds_store_2addr_b32 v63, v40, v41 offset1:68
	ds_store_2addr_b32 v45, v44, v47 offset0:66 offset1:134
	ds_store_2addr_b32 v63, v46, v49 offset0:136 offset1:204
	;; [unrolled: 1-line block ×6, first 2 shown]
	s_and_saveexec_b32 s1, vcc_lo
	s_cbranch_execz .LBB0_17
; %bb.16:
	s_wait_alu 0xfffe
	v_add_co_u32 v40, s2, s2, v43
	s_wait_alu 0xf1ff
	v_add_co_ci_u32_e64 v41, null, s3, 0, s2
	s_clause 0x1
	global_load_b32 v42, v[40:41], off offset:1904
	global_load_b32 v40, v[40:41], off offset:3944
	ds_load_b32 v41, v63 offset:1904
	ds_load_b32 v43, v63 offset:3944
	s_wait_dscnt 0x1
	v_lshrrev_b32_e32 v44, 16, v41
	s_wait_dscnt 0x0
	v_lshrrev_b32_e32 v47, 16, v43
	s_wait_loadcnt 0x1
	v_lshrrev_b32_e32 v46, 16, v42
	s_wait_loadcnt 0x0
	v_lshrrev_b32_e32 v49, 16, v40
	s_delay_alu instid0(VALU_DEP_2) | instskip(SKIP_1) | instid1(VALU_DEP_3)
	v_mul_f16_e32 v54, v44, v46
	v_mul_f16_e32 v46, v41, v46
	;; [unrolled: 1-line block ×4, first 2 shown]
	s_delay_alu instid0(VALU_DEP_4) | instskip(NEXT) | instid1(VALU_DEP_4)
	v_fma_f16 v41, v41, v42, -v54
	v_fmac_f16_e32 v46, v44, v42
	s_delay_alu instid0(VALU_DEP_4) | instskip(NEXT) | instid1(VALU_DEP_4)
	v_fma_f16 v42, v43, v40, -v55
	v_fmac_f16_e32 v49, v47, v40
	s_delay_alu instid0(VALU_DEP_3) | instskip(NEXT) | instid1(VALU_DEP_2)
	v_pack_b32_f16 v40, v41, v46
	v_pack_b32_f16 v41, v42, v49
	ds_store_b32 v63, v40 offset:1904
	ds_store_b32 v63, v41 offset:3944
.LBB0_17:
	s_wait_alu 0xfffe
	s_or_b32 exec_lo, exec_lo, s1
	global_wb scope:SCOPE_SE
	s_wait_dscnt 0x0
	s_barrier_signal -1
	s_barrier_wait -1
	global_inv scope:SCOPE_SE
	ds_load_2addr_b32 v[59:60], v63 offset1:68
	ds_load_2addr_b32 v[43:44], v50 offset0:152 offset1:254
	ds_load_2addr_b32 v[41:42], v45 offset0:66 offset1:134
	;; [unrolled: 1-line block ×6, first 2 shown]
	s_and_saveexec_b32 s1, vcc_lo
	s_cbranch_execz .LBB0_19
; %bb.18:
	ds_load_b32 v53, v137 offset:1904
	ds_load_b32 v48, v137 offset:3944
	s_wait_dscnt 0x1
	v_lshrrev_b32_e32 v167, 16, v53
	s_wait_dscnt 0x0
	v_lshrrev_b32_e32 v51, 16, v48
.LBB0_19:
	s_wait_alu 0xfffe
	s_or_b32 exec_lo, exec_lo, s1
	s_wait_dscnt 0x5
	v_pk_add_f16 v40, v59, v44 neg_lo:[0,1] neg_hi:[0,1]
	s_wait_dscnt 0x4
	v_pk_add_f16 v52, v60, v41 neg_lo:[0,1] neg_hi:[0,1]
	;; [unrolled: 2-line block ×4, first 2 shown]
	v_sub_f16_e32 v42, v53, v48
	v_sub_f16_e64 v168, v167, v51
	s_wait_dscnt 0x1
	v_pk_add_f16 v48, v55, v46 neg_lo:[0,1] neg_hi:[0,1]
	s_wait_dscnt 0x0
	v_pk_add_f16 v46, v56, v61 neg_lo:[0,1] neg_hi:[0,1]
	v_pk_add_f16 v44, v43, v62 neg_lo:[0,1] neg_hi:[0,1]
	v_fma_f16 v41, v53, 2.0, -v42
	v_fma_f16 v167, v167, 2.0, -v168
	v_pk_fma_f16 v39, v59, 2.0, v40 op_sel_hi:[1,0,1] neg_lo:[0,0,1] neg_hi:[0,0,1]
	v_pk_fma_f16 v51, v60, 2.0, v52 op_sel_hi:[1,0,1] neg_lo:[0,0,1] neg_hi:[0,0,1]
	;; [unrolled: 1-line block ×7, first 2 shown]
	global_wb scope:SCOPE_SE
	s_barrier_signal -1
	s_barrier_wait -1
	global_inv scope:SCOPE_SE
	ds_store_b64 v107, v[39:40]
	ds_store_b64 v110, v[51:52]
	;; [unrolled: 1-line block ×7, first 2 shown]
	s_and_saveexec_b32 s1, vcc_lo
	s_cbranch_execz .LBB0_21
; %bb.20:
	v_perm_b32 v56, v168, v42, 0x5040100
	v_perm_b32 v55, v167, v41, 0x5040100
	ds_store_b64 v109, v[55:56]
.LBB0_21:
	s_wait_alu 0xfffe
	s_or_b32 exec_lo, exec_lo, s1
	v_lshrrev_b32_e32 v55, 16, v39
	v_lshrrev_b32_e32 v59, 16, v51
	;; [unrolled: 1-line block ×7, first 2 shown]
	global_wb scope:SCOPE_SE
	s_wait_dscnt 0x0
	s_barrier_signal -1
	s_barrier_wait -1
	global_inv scope:SCOPE_SE
	s_and_saveexec_b32 s1, s0
	s_cbranch_execz .LBB0_23
; %bb.22:
	v_add_nc_u32_e32 v41, 0x200, v63
	v_add_nc_u32_e32 v42, 0x400, v63
	;; [unrolled: 1-line block ×3, first 2 shown]
	ds_load_2addr_b32 v[39:40], v63 offset1:60
	ds_load_2addr_b32 v[51:52], v63 offset0:120 offset1:180
	v_add_nc_u32_e32 v44, 0xa00, v63
	ds_load_2addr_b32 v[49:50], v41 offset0:112 offset1:172
	v_add_nc_u32_e32 v41, 0x800, v63
	v_add_nc_u32_e32 v55, 0xc00, v63
	ds_load_2addr_b32 v[53:54], v42 offset0:104 offset1:164
	ds_load_2addr_b32 v[47:48], v43 offset0:96 offset1:156
	;; [unrolled: 1-line block ×5, first 2 shown]
	ds_load_b32 v145, v63 offset:3840
	s_wait_dscnt 0x8
	v_lshrrev_b32_e32 v55, 16, v39
	s_wait_dscnt 0x7
	v_lshrrev_b32_e32 v59, 16, v51
	s_wait_dscnt 0x5
	v_lshrrev_b32_e32 v98, 16, v53
	v_lshrrev_b32_e32 v58, 16, v49
	s_wait_dscnt 0x4
	v_lshrrev_b32_e32 v61, 16, v47
	s_wait_dscnt 0x3
	;; [unrolled: 2-line block ×4, first 2 shown]
	v_lshrrev_b32_e32 v167, 16, v41
	v_lshrrev_b32_e32 v168, 16, v42
	s_wait_dscnt 0x0
	v_lshrrev_b32_e32 v146, 16, v145
.LBB0_23:
	s_wait_alu 0xfffe
	s_or_b32 exec_lo, exec_lo, s1
	v_lshrrev_b32_e32 v57, 16, v40
	v_mul_f16_e64 v60, v250, v40
	v_mul_f16_e64 v56, v251, v59
	;; [unrolled: 1-line block ×3, first 2 shown]
	v_lshrrev_b32_e32 v67, 16, v52
	v_mul_f16_e64 v200, v250, v57
	v_fma_f16 v57, v12, v57, -v60
	v_fmac_f16_e32 v56, v13, v51
	v_fma_f16 v51, v13, v59, -v65
	v_mul_f16_e64 v13, v249, v67
	v_fmac_f16_e64 v200, v12, v40
	v_mul_f16_e64 v40, v249, v52
	v_mul_f16_e64 v12, v248, v58
	;; [unrolled: 1-line block ×3, first 2 shown]
	v_lshrrev_b32_e32 v65, 16, v50
	v_fmac_f16_e32 v13, v14, v52
	v_fma_f16 v59, v14, v67, -v40
	v_fmac_f16_e32 v12, v15, v49
	v_fma_f16 v58, v15, v58, -v60
	v_mul_f16_e64 v49, v247, v65
	v_mul_f16_e64 v14, v247, v50
	v_mul_f16_e32 v52, v64, v98
	v_mul_f16_e32 v15, v64, v53
	v_lshrrev_b32_e32 v40, 16, v54
	v_fmac_f16_e32 v49, v8, v50
	v_fma_f16 v60, v8, v65, -v14
	v_fmac_f16_e32 v52, v9, v53
	v_fma_f16 v50, v9, v98, -v15
	v_mul_f16_e32 v8, v116, v40
	v_mul_f16_e32 v14, v116, v54
	;; [unrolled: 1-line block ×4, first 2 shown]
	v_lshrrev_b32_e32 v65, 16, v48
	v_fmac_f16_e32 v8, v10, v54
	v_fma_f16 v54, v10, v40, -v14
	v_fmac_f16_e32 v9, v11, v47
	v_fma_f16 v47, v11, v61, -v15
	v_mul_f16_e32 v10, v74, v65
	v_lshrrev_b32_e32 v14, 16, v46
	v_mul_f16_e32 v15, v74, v48
	v_mul_f16_e32 v53, v70, v95
	;; [unrolled: 1-line block ×3, first 2 shown]
	v_fmac_f16_e32 v10, v0, v48
	v_mul_f16_e32 v11, v66, v14
	v_fma_f16 v61, v0, v65, -v15
	v_mul_f16_e32 v0, v66, v46
	v_fmac_f16_e32 v53, v1, v45
	v_fma_f16 v48, v1, v95, -v40
	v_fmac_f16_e32 v11, v2, v46
	v_mul_f16_e32 v45, v115, v62
	v_mul_f16_e32 v1, v115, v43
	v_lshrrev_b32_e32 v15, 16, v44
	v_fma_f16 v2, v2, v14, -v0
	v_mul_f16_e64 v14, v114, v145
	v_mul_f16_e64 v0, v114, v146
	v_fmac_f16_e32 v45, v3, v43
	v_fma_f16 v46, v3, v62, -v1
	v_mul_f16_e32 v43, v111, v15
	v_fma_f16 v1, v7, v146, -v14
	v_mul_f16_e32 v14, v111, v44
	v_fmac_f16_e64 v0, v7, v145
	v_mul_f16_e32 v7, v29, v42
	v_fmac_f16_e32 v43, v4, v44
	v_sub_f16_e64 v202, v57, v1
	v_fma_f16 v44, v4, v15, -v14
	v_mul_f16_e64 v4, v29, v168
	v_fma_f16 v7, v6, v168, -v7
	v_add_f16_e64 v201, v0, v200
	v_mul_f16_e64 v203, 0xb964, v202
	v_add_f16_e32 v99, v1, v57
	v_fmac_f16_e32 v4, v6, v42
	v_sub_f16_e32 v98, v51, v7
	v_mul_f16_e64 v3, v105, v167
	v_mul_f16_e32 v14, v105, v41
	v_fma_f16 v15, v201, 0x39e9, -v203
	v_sub_f16_e64 v62, v200, v0
	v_mul_f16_e64 v187, 0x39e9, v99
	v_add_f16_e32 v6, v4, v56
	v_mul_f16_e64 v188, 0xbbf7, v98
	v_add_f16_e32 v105, v7, v51
	v_fmac_f16_e32 v3, v5, v41
	v_fma_f16 v5, v5, v167, -v14
	v_add_f16_e32 v14, v39, v15
	v_fma_f16 v15, 0xb964, v62, v187
	v_mul_f16_e64 v204, 0xbb29, v202
	v_mul_f16_e32 v74, 0x3722, v99
	v_fma_f16 v65, v6, 0x2de8, -v188
	v_sub_f16_e32 v42, v56, v4
	v_mul_f16_e32 v66, 0x2de8, v105
	v_add_f16_e32 v15, v55, v15
	v_fma_f16 v40, v201, 0x3722, -v204
	v_fmamk_f16 v41, v62, 0xbb29, v74
	v_add_f16_e32 v14, v65, v14
	v_fmamk_f16 v65, v42, 0xbbf7, v66
	v_mul_f16_e32 v67, 0xba62, v98
	v_mul_f16_e32 v68, 0xb8d2, v105
	v_add_f16_e32 v109, v5, v59
	v_add_f16_e32 v40, v39, v40
	v_add_f16_e32 v41, v55, v41
	v_sub_f16_e32 v101, v59, v5
	v_add_f16_e32 v15, v65, v15
	v_fma_f16 v65, v6, 0xb8d2, -v67
	v_fmamk_f16 v67, v42, 0xba62, v68
	v_sub_f16_e32 v96, v13, v3
	v_mul_f16_e32 v68, 0xb8d2, v109
	v_add_f16_e32 v95, v3, v13
	v_mul_f16_e64 v190, 0xba62, v101
	v_add_f16_e32 v40, v65, v40
	v_add_f16_e32 v41, v67, v41
	v_sub_f16_e32 v106, v58, v44
	v_fmamk_f16 v65, v96, 0xba62, v68
	v_mul_f16_e32 v67, 0x31e1, v101
	v_add_f16_e32 v115, v44, v58
	v_fma_f16 v69, v95, 0xb8d2, -v190
	v_mul_f16_e64 v195, 0xbbdd, v109
	v_add_f16_e32 v97, v43, v12
	v_mul_f16_e64 v189, 0xb1e1, v106
	v_add_f16_e32 v15, v65, v15
	v_fma_f16 v65, v95, 0xbbdd, -v67
	v_sub_f16_e32 v100, v12, v43
	v_mul_f16_e32 v72, 0xbbdd, v115
	v_sub_f16_e32 v110, v60, v46
	v_add_f16_e64 v168, v46, v60
	v_add_f16_e32 v14, v69, v14
	v_fma_f16 v67, 0x31e1, v96, v195
	v_fma_f16 v69, v97, 0xbbdd, -v189
	v_add_f16_e32 v40, v65, v40
	v_fmamk_f16 v65, v100, 0xb1e1, v72
	v_mul_f16_e64 v196, 0x3bb2, v106
	v_mul_f16_e64 v199, 0xb461, v115
	v_add_f16_e32 v102, v45, v49
	v_mul_f16_e32 v71, 0x3836, v110
	v_sub_f16_e32 v104, v49, v45
	v_mul_f16_e64 v193, 0xbacd, v168
	v_sub_f16_e32 v116, v50, v2
	v_add_f16_e64 v172, v2, v50
	v_add_f16_e32 v41, v67, v41
	v_add_f16_e32 v14, v69, v14
	v_fma_f16 v67, v97, 0xb461, -v196
	v_fma_f16 v69, 0x3bb2, v100, v199
	v_fma_f16 v71, v102, 0xbacd, -v71
	v_add_f16_e32 v15, v65, v15
	v_fma_f16 v65, 0x3836, v104, v193
	v_mul_f16_e64 v198, 0x3964, v110
	v_mul_f16_e64 v167, 0x39e9, v168
	v_add_f16_e32 v103, v11, v52
	v_mul_f16_e32 v77, 0x3bb2, v116
	v_sub_f16_e32 v107, v52, v11
	v_mul_f16_e64 v73, 0xb461, v172
	v_add_f16_e32 v40, v67, v40
	v_add_f16_e32 v41, v69, v41
	;; [unrolled: 1-line block ×3, first 2 shown]
	v_fma_f16 v67, v102, 0x39e9, -v198
	v_fma_f16 v69, 0x3964, v104, v167
	v_fma_f16 v71, v103, 0xb461, -v77
	v_add_f16_e32 v15, v65, v15
	v_fmamk_f16 v65, v107, 0x3bb2, v73
	v_mul_f16_e64 v194, 0xb5c8, v116
	v_sub_f16_e64 v169, v54, v48
	v_add_f16_e64 v178, v48, v54
	v_add_f16_e32 v40, v67, v40
	v_add_f16_e32 v41, v69, v41
	;; [unrolled: 1-line block ×4, first 2 shown]
	v_mul_f16_e64 v80, 0x3b76, v172
	v_fma_f16 v65, v103, 0x3b76, -v194
	v_add_f16_e32 v108, v53, v8
	v_mul_f16_e64 v69, 0x3b29, v169
	v_sub_f16_e32 v114, v8, v53
	v_mul_f16_e64 v71, 0x3722, v178
	v_mul_f16_e64 v118, 0xbbf7, v169
	v_fmamk_f16 v67, v107, 0xb5c8, v80
	v_fma_f16 v69, v108, 0x3722, -v69
	v_add_f16_e32 v40, v65, v40
	v_fmamk_f16 v65, v114, 0x3b29, v71
	v_fma_f16 v71, v108, 0x2de8, -v118
	v_mul_f16_e64 v85, 0x2de8, v178
	v_sub_f16_e64 v173, v47, v61
	v_add_f16_e64 v179, v61, v47
	v_add_f16_e32 v41, v67, v41
	v_add_f16_e32 v14, v69, v14
	;; [unrolled: 1-line block ×4, first 2 shown]
	v_fmamk_f16 v40, v114, 0xbbf7, v85
	v_add_f16_e32 v113, v10, v9
	v_sub_f16_e64 v145, v9, v10
	v_mul_f16_e64 v69, 0x35c8, v173
	v_mul_f16_e64 v94, 0x3b76, v179
	;; [unrolled: 1-line block ×4, first 2 shown]
	v_add_f16_e32 v67, v40, v41
	v_fma_f16 v40, v113, 0x3b76, -v69
	v_fma_f16 v41, 0x35c8, v145, v94
	v_fma_f16 v69, v113, 0xbacd, -v89
	v_fma_f16 v71, 0xb836, v145, v86
	global_wb scope:SCOPE_SE
	v_add_f16_e32 v40, v40, v14
	v_add_f16_e32 v41, v41, v15
	;; [unrolled: 1-line block ×4, first 2 shown]
	s_barrier_signal -1
	s_barrier_wait -1
	global_inv scope:SCOPE_SE
	s_and_saveexec_b32 s1, s0
	s_cbranch_execz .LBB0_25
; %bb.24:
	v_mul_f16_e64 v87, 0xb5c8, v202
	v_mul_f16_e64 v205, 0x3722, v201
	;; [unrolled: 1-line block ×8, first 2 shown]
	v_fma_f16 v92, 0x3b76, v201, v87
	v_fma_f16 v87, v201, 0x3b76, -v87
	v_add_f16_e64 v65, v205, v204
	v_add_f16_e64 v67, v67, v203
	v_fma_f16 v71, v201, 0xbbdd, -v69
	v_fmac_f16_e64 v69, 0xbbdd, v201
	v_fma_f16 v75, v201, 0xbacd, -v73
	v_fmac_f16_e64 v73, 0xbacd, v201
	;; [unrolled: 2-line block ×5, first 2 shown]
	v_add_f16_e64 v201, v39, v87
	v_mul_f16_e32 v87, 0xbbf7, v62
	v_add_f16_e32 v88, v39, v88
	v_add_f16_e32 v91, v39, v91
	;; [unrolled: 1-line block ×12, first 2 shown]
	v_add_f16_e64 v197, v39, v200
	v_add_f16_e32 v92, v39, v92
	v_fmamk_f16 v39, v99, 0x2de8, v87
	v_mul_f16_e64 v204, 0xb1e1, v42
	v_mul_f16_e64 v205, 0x3bb2, v96
	;; [unrolled: 1-line block ×4, first 2 shown]
	v_add_f16_e32 v39, v55, v39
	v_fma_f16 v200, 0xbbdd, v105, v204
	v_mul_f16_e64 v208, 0xbb29, v104
	v_mul_f16_e64 v209, 0x3bb2, v101
	v_mul_f16_e64 v210, 0xb836, v107
	v_mul_f16_e64 v211, 0x35c8, v106
	v_add_f16_e64 v39, v200, v39
	v_fma_f16 v200, 0xb461, v109, v205
	v_mul_f16_e64 v212, 0x3a62, v114
	v_mul_f16_e64 v213, 0xbb29, v110
	v_mul_f16_e64 v214, 0x3964, v145
	v_mul_f16_e64 v215, 0xb836, v116
	v_add_f16_e64 v39, v200, v39
	;; [unrolled: 6-line block ×3, first 2 shown]
	v_fma_f16 v200, v6, 0xbbdd, -v207
	v_mul_f16_e64 v220, 0xbb29, v100
	v_fma_f16 v202, 0xbacd, v105, v218
	v_mul_f16_e64 v221, 0x3836, v98
	v_mul_f16_e64 v222, 0xb1e1, v104
	v_add_f16_e64 v91, v200, v91
	v_fma_f16 v200, 0x3722, v168, v208
	v_mul_f16_e64 v223, 0x3964, v101
	v_mul_f16_e64 v224, 0x3bf7, v107
	;; [unrolled: 1-line block ×4, first 2 shown]
	v_add_f16_e64 v39, v200, v39
	v_fma_f16 v200, v95, 0xb461, -v209
	v_mul_f16_e64 v227, 0xb1e1, v110
	v_mul_f16_e64 v228, 0xba62, v145
	;; [unrolled: 1-line block ×4, first 2 shown]
	v_add_f16_e64 v91, v200, v91
	v_fma_f16 v200, 0xbacd, v172, v210
	v_mul_f16_e64 v231, 0xba62, v62
	v_mul_f16_e64 v232, 0x3bb2, v42
	;; [unrolled: 1-line block ×3, first 2 shown]
	v_dual_mov_b32 v182, v162 :: v_dual_mov_b32 v183, v142
	v_add_f16_e64 v39, v200, v39
	v_fma_f16 v200, v97, 0x3b76, -v211
	v_fma_f16 v233, 0xb461, v105, v232
	v_dual_mov_b32 v162, v141 :: v_dual_mov_b32 v141, v245
	v_dual_mov_b32 v142, v246 :: v_dual_mov_b32 v191, v117
	s_delay_alu instid0(VALU_DEP_4) | instskip(SKIP_4) | instid1(VALU_DEP_4)
	v_add_f16_e64 v91, v200, v91
	v_fma_f16 v200, 0xb8d2, v178, v212
	v_mul_f16_e64 v248, 0x3b29, v42
	v_dual_mov_b32 v192, v123 :: v_dual_mov_b32 v185, v165
	v_dual_mov_b32 v165, v144 :: v_dual_mov_b32 v144, v128
	v_add_f16_e64 v39, v200, v39
	v_fma_f16 v200, v102, 0x3722, -v213
	v_fma_f16 v249, 0x3722, v105, v248
	v_dual_mov_b32 v111, v150 :: v_dual_mov_b32 v150, v129
	v_dual_mov_b32 v112, v151 :: v_dual_mov_b32 v151, v130
	s_delay_alu instid0(VALU_DEP_4) | instskip(SKIP_4) | instid1(VALU_DEP_4)
	v_add_f16_e64 v91, v200, v91
	v_fma_f16 v200, 0x39e9, v179, v214
	v_dual_mov_b32 v146, v152 :: v_dual_mov_b32 v81, v118
	v_mov_b32_e32 v152, v131
	v_mov_b32_e32 v118, v167
	v_add_f16_e64 v39, v200, v39
	v_fma_f16 v200, v103, 0xbacd, -v215
	v_mov_b32_e32 v167, v153
	v_dual_mov_b32 v153, v132 :: v_dual_mov_b32 v170, v154
	v_dual_mov_b32 v154, v133 :: v_dual_mov_b32 v171, v155
	s_delay_alu instid0(VALU_DEP_4) | instskip(SKIP_3) | instid1(VALU_DEP_3)
	v_add_f16_e64 v91, v200, v91
	v_fma_f16 v200, v108, 0xb8d2, -v216
	v_dual_mov_b32 v184, v164 :: v_dual_mov_b32 v155, v134
	v_dual_mov_b32 v164, v143 :: v_dual_mov_b32 v175, v157
	v_add_f16_e64 v91, v200, v91
	v_fma_f16 v200, 0xb461, v99, v217
	v_mov_b32_e32 v143, v127
	v_mul_f16_e32 v127, 0x35c8, v42
	v_dual_mov_b32 v176, v158 :: v_dual_mov_b32 v157, v136
	s_delay_alu instid0(VALU_DEP_4) | instskip(SKIP_1) | instid1(VALU_DEP_4)
	v_add_f16_e64 v200, v55, v200
	v_dual_mov_b32 v158, v137 :: v_dual_mov_b32 v177, v159
	v_fma_f16 v137, 0x3b76, v105, v127
	v_mul_f16_e32 v29, 0xb836, v96
	s_delay_alu instid0(VALU_DEP_4) | instskip(SKIP_3) | instid1(VALU_DEP_3)
	v_add_f16_e64 v202, v202, v200
	v_fma_f16 v200, v113, 0x39e9, -v219
	v_dual_mov_b32 v76, v66 :: v_dual_mov_b32 v159, v138
	v_dual_mov_b32 v186, v166 :: v_dual_mov_b32 v181, v161
	v_add_f16_e64 v200, v200, v91
	v_mul_f16_e32 v91, 0x3964, v96
	v_dual_mov_b32 v166, v148 :: v_dual_mov_b32 v161, v140
	v_mov_b32_e32 v148, v68
	v_fma_f16 v127, v105, 0x3b76, -v127
	s_delay_alu instid0(VALU_DEP_4)
	v_fma_f16 v203, 0x39e9, v109, v91
	v_mov_b32_e32 v174, v156
	v_mov_b32_e32 v156, v135
	v_mov_b32_e32 v180, v160
	v_mov_b32_e32 v160, v139
	v_add_f16_e64 v202, v203, v202
	v_fma_f16 v203, 0x3722, v115, v220
	v_add_f16_e32 v57, v57, v55
	v_add_f16_e64 v56, v56, v197
	v_fmac_f16_e64 v207, 0xbbdd, v6
	v_fmac_f16_e64 v209, 0xb461, v95
	v_add_f16_e64 v202, v203, v202
	v_fma_f16 v203, v6, 0xbacd, -v221
	v_fmac_f16_e64 v221, 0xbacd, v6
	v_add_f16_e32 v51, v51, v57
	v_add_f16_e32 v13, v13, v56
	v_mul_f16_e32 v57, 0xb964, v98
	v_add_f16_e64 v88, v203, v88
	v_fma_f16 v203, 0xbbdd, v168, v222
	v_add_f16_e32 v51, v59, v51
	v_add_f16_e32 v12, v12, v13
	v_add_f16_e64 v83, v207, v83
	v_fmac_f16_e64 v211, 0x3b76, v97
	v_add_f16_e64 v202, v203, v202
	v_fma_f16 v203, v95, 0x39e9, -v223
	v_add_f16_e32 v13, v58, v51
	v_add_f16_e32 v12, v49, v12
	v_mul_f16_e32 v51, 0xbb29, v101
	v_mul_f16_e32 v49, 0xbbf7, v106
	v_add_f16_e64 v88, v203, v88
	v_fma_f16 v203, 0x2de8, v172, v224
	v_add_f16_e32 v13, v60, v13
	v_add_f16_e32 v12, v52, v12
	v_fmamk_f16 v58, v95, 0x3722, v51
	v_fmac_f16_e64 v223, 0x39e9, v95
	v_add_f16_e64 v202, v203, v202
	v_fma_f16 v203, v97, 0x3722, -v225
	v_add_f16_e32 v13, v50, v13
	v_add_f16_e32 v8, v8, v12
	v_fmamk_f16 v60, v97, 0x2de8, v49
	v_mul_f16_e32 v50, 0xbbb2, v110
	v_add_f16_e64 v88, v203, v88
	v_fma_f16 v203, 0x3b76, v178, v226
	v_add_f16_e32 v12, v54, v13
	v_add_f16_e32 v8, v9, v8
	v_fmac_f16_e64 v225, 0x3722, v97
	v_add_f16_e64 v83, v209, v83
	v_add_f16_e64 v202, v203, v202
	v_fma_f16 v203, v102, 0xbbdd, -v227
	v_add_f16_e32 v9, v47, v12
	v_add_f16_e32 v8, v10, v8
	v_fmamk_f16 v52, v102, 0xb461, v50
	v_mul_f16_e32 v12, 0xba62, v116
	v_add_f16_e64 v88, v203, v88
	v_fma_f16 v203, 0xb8d2, v179, v228
	v_add_f16_e32 v9, v61, v9
	v_add_f16_e32 v8, v53, v8
	v_fmac_f16_e64 v227, 0xbbdd, v102
	v_add_f16_e64 v83, v211, v83
	v_add_f16_e64 v202, v203, v202
	v_fma_f16 v203, v103, 0x2de8, -v229
	v_add_f16_e32 v9, v48, v9
	v_add_f16_e32 v8, v11, v8
	v_fmac_f16_e64 v213, 0x3722, v102
	v_mul_f16_e64 v56, 0xbacd, v178
	v_add_f16_e64 v88, v203, v88
	v_fma_f16 v203, v108, 0x3b76, -v230
	v_add_f16_e32 v2, v2, v9
	v_add_f16_e32 v8, v45, v8
	v_fmamk_f16 v47, v103, 0xb8d2, v12
	v_fmac_f16_e64 v229, 0x2de8, v103
	v_add_f16_e64 v88, v203, v88
	v_fma_f16 v203, 0xb8d2, v99, v231
	v_add_f16_e32 v2, v46, v2
	v_add_f16_e32 v8, v43, v8
	v_add_f16_e64 v83, v213, v83
	v_fmac_f16_e64 v215, 0xbacd, v103
	v_add_f16_e64 v203, v55, v203
	v_add_f16_e32 v2, v44, v2
	v_fmamk_f16 v59, v114, 0x3836, v56
	v_mul_f16_e64 v13, 0xbbdd, v179
	v_mul_f16_e64 v48, 0xb1e1, v173
	v_add_f16_e64 v233, v233, v203
	v_fma_f16 v203, v113, 0xb8d2, -v234
	v_add_f16_e32 v2, v5, v2
	v_add_f16_e32 v3, v3, v8
	v_fmac_f16_e64 v230, 0x3b76, v108
	v_add_f16_e64 v83, v215, v83
	v_add_f16_e64 v203, v203, v88
	v_mul_f16_e32 v88, 0xb5c8, v96
	v_add_f16_e32 v2, v7, v2
	v_lshrrev_b32_e32 v7, 1, v84
	v_fmac_f16_e64 v216, 0xb8d2, v108
	v_fmac_f16_e32 v56, 0xb836, v114
	v_fma_f16 v235, 0x3b76, v109, v88
	v_fma_f16 v8, v103, 0xb8d2, -v12
	v_fma_f16 v54, 0x31e1, v145, v13
	v_add_f16_e32 v3, v4, v3
	v_mul_u32_u24_e32 v7, 34, v7
	v_add_f16_e64 v233, v235, v233
	v_mul_f16_e64 v235, 0xb836, v100
	v_add_f16_e32 v1, v1, v2
	v_and_b32_e32 v2, 1, v84
	v_fmac_f16_e64 v234, 0xb8d2, v113
	v_add_f16_e64 v83, v216, v83
	v_fma_f16 v236, 0xbacd, v115, v235
	v_fmac_f16_e64 v219, 0x39e9, v113
	v_fmac_f16_e64 v13, 0xb1e1, v145
	v_add_f16_e32 v0, v0, v3
	v_or_b32_e32 v2, v7, v2
	v_add_f16_e64 v233, v236, v233
	v_mul_f16_e64 v236, 0x3bb2, v98
	v_add_f16_e64 v83, v219, v83
	v_pack_b32_f16 v0, v0, v1
	v_lshl_add_u32 v1, v2, 2, v93
	s_delay_alu instid0(VALU_DEP_4) | instskip(SKIP_1) | instid1(VALU_DEP_2)
	v_fma_f16 v237, v6, 0xb461, -v236
	v_fmac_f16_e64 v236, 0xb461, v6
	v_add_f16_e64 v79, v237, v79
	v_mul_f16_e64 v237, 0x3bf7, v104
	s_delay_alu instid0(VALU_DEP_1) | instskip(NEXT) | instid1(VALU_DEP_1)
	v_fma_f16 v238, 0x2de8, v168, v237
	v_add_f16_e64 v233, v238, v233
	v_mul_f16_e64 v238, 0xb5c8, v101
	s_delay_alu instid0(VALU_DEP_1) | instskip(SKIP_1) | instid1(VALU_DEP_2)
	v_fma_f16 v239, v95, 0x3b76, -v238
	v_fmac_f16_e64 v238, 0x3b76, v95
	v_add_f16_e64 v79, v239, v79
	v_mul_f16_e64 v239, 0xb964, v107
	s_delay_alu instid0(VALU_DEP_1) | instskip(NEXT) | instid1(VALU_DEP_1)
	v_fma_f16 v240, 0x39e9, v172, v239
	v_add_f16_e64 v233, v240, v233
	v_mul_f16_e64 v240, 0xb836, v106
	s_delay_alu instid0(VALU_DEP_1) | instskip(SKIP_1) | instid1(VALU_DEP_2)
	;; [unrolled: 9-line block ×4, first 2 shown]
	v_fma_f16 v245, v103, 0x39e9, -v244
	v_fmac_f16_e64 v244, 0x39e9, v103
	v_add_f16_e64 v79, v245, v79
	v_mul_f16_e64 v245, 0xb1e1, v169
	s_delay_alu instid0(VALU_DEP_1) | instskip(SKIP_1) | instid1(VALU_DEP_2)
	v_fma_f16 v246, v108, 0xbbdd, -v245
	v_fmac_f16_e64 v245, 0xbbdd, v108
	v_add_f16_e64 v79, v246, v79
	v_mul_f16_e64 v246, 0xb836, v62
	s_delay_alu instid0(VALU_DEP_1) | instskip(NEXT) | instid1(VALU_DEP_1)
	v_fma_f16 v247, 0xbacd, v99, v246
	v_add_f16_e64 v247, v55, v247
	s_delay_alu instid0(VALU_DEP_1) | instskip(SKIP_1) | instid1(VALU_DEP_1)
	v_add_f16_e64 v247, v249, v247
	v_mul_f16_e64 v249, 0x3b29, v173
	v_fma_f16 v250, v113, 0x3722, -v249
	v_fmac_f16_e64 v249, 0x3722, v113
	s_delay_alu instid0(VALU_DEP_2) | instskip(SKIP_1) | instid1(VALU_DEP_1)
	v_add_f16_e64 v79, v250, v79
	v_mul_f16_e64 v250, 0xbbf7, v96
	v_fma_f16 v251, 0x2de8, v109, v250
	s_delay_alu instid0(VALU_DEP_1) | instskip(SKIP_1) | instid1(VALU_DEP_1)
	v_add_f16_e64 v247, v251, v247
	v_mul_f16_e64 v251, 0x3a62, v100
	v_fma_f16 v252, 0xb8d2, v115, v251
	s_delay_alu instid0(VALU_DEP_1) | instskip(SKIP_1) | instid1(VALU_DEP_1)
	v_add_f16_e64 v247, v252, v247
	v_mul_f16_e64 v252, 0x3b29, v98
	v_fma_f16 v253, v6, 0x3722, -v252
	v_fmac_f16_e64 v252, 0x3722, v6
	s_delay_alu instid0(VALU_DEP_2) | instskip(SKIP_1) | instid1(VALU_DEP_1)
	v_add_f16_e64 v75, v253, v75
	v_mul_f16_e64 v253, 0xb5c8, v104
	v_fma_f16 v254, 0x3b76, v168, v253
	s_delay_alu instid0(VALU_DEP_1) | instskip(SKIP_1) | instid1(VALU_DEP_1)
	v_add_f16_e64 v247, v254, v247
	v_mul_f16_e64 v254, 0xbbf7, v101
	v_fma_f16 v255, v95, 0x2de8, -v254
	v_fmac_f16_e64 v254, 0x2de8, v95
	s_delay_alu instid0(VALU_DEP_2) | instskip(SKIP_1) | instid1(VALU_DEP_1)
	;; [unrolled: 9-line block ×3, first 2 shown]
	v_add_f16_e32 v75, v123, v75
	v_mul_f16_e32 v123, 0x3964, v114
	v_fma_f16 v128, 0x39e9, v178, v123
	s_delay_alu instid0(VALU_DEP_1) | instskip(SKIP_1) | instid1(VALU_DEP_1)
	v_add_f16_e64 v117, v128, v117
	v_mul_f16_e64 v128, 0xb5c8, v110
	v_fma_f16 v129, v102, 0x3b76, -v128
	v_fmac_f16_e64 v128, 0x3b76, v102
	s_delay_alu instid0(VALU_DEP_2) | instskip(SKIP_1) | instid1(VALU_DEP_1)
	v_add_f16_e64 v75, v129, v75
	v_mul_f16_e64 v129, 0xbbb2, v145
	v_fma_f16 v130, 0xb461, v179, v129
	s_delay_alu instid0(VALU_DEP_1) | instskip(SKIP_1) | instid1(VALU_DEP_1)
	v_add_f16_e64 v117, v130, v117
	v_mul_f16_e64 v130, 0xb1e1, v116
	v_fma_f16 v131, v103, 0xbbdd, -v130
	v_fmac_f16_e64 v130, 0xbbdd, v103
	s_delay_alu instid0(VALU_DEP_2) | instskip(SKIP_1) | instid1(VALU_DEP_1)
	v_add_f16_e64 v75, v131, v75
	v_mul_f16_e64 v131, 0x3964, v169
	v_fma_f16 v132, v108, 0x39e9, -v131
	v_fmac_f16_e64 v131, 0x39e9, v108
	s_delay_alu instid0(VALU_DEP_2) | instskip(SKIP_1) | instid1(VALU_DEP_1)
	v_add_f16_e64 v75, v132, v75
	v_mul_f16_e64 v132, 0xb1e1, v62
	v_fma_f16 v133, 0xbbdd, v99, v132
	v_fma_f16 v132, v99, 0xbbdd, -v132
	s_delay_alu instid0(VALU_DEP_2) | instskip(NEXT) | instid1(VALU_DEP_2)
	v_add_f16_e64 v133, v55, v133
	v_add_f16_e64 v132, v55, v132
	s_delay_alu instid0(VALU_DEP_2) | instskip(SKIP_1) | instid1(VALU_DEP_3)
	v_add_f16_e64 v133, v137, v133
	v_mul_f16_e64 v137, 0xbbb2, v173
	v_add_f16_e64 v127, v127, v132
	s_delay_alu instid0(VALU_DEP_2) | instskip(SKIP_1) | instid1(VALU_DEP_2)
	v_fma_f16 v28, v113, 0xb461, -v137
	v_fmac_f16_e64 v137, 0xb461, v113
	v_add_f16_e32 v28, v28, v75
	v_fmamk_f16 v75, v109, 0xbacd, v29
	v_fma_f16 v29, v109, 0xbacd, -v29
	s_delay_alu instid0(VALU_DEP_2) | instskip(SKIP_1) | instid1(VALU_DEP_3)
	v_add_f16_e64 v75, v75, v133
	v_mul_f16_e64 v133, 0x3964, v100
	v_add_f16_e32 v29, v29, v127
	v_mul_f16_e64 v127, 0xbbb2, v169
	s_delay_alu instid0(VALU_DEP_3) | instskip(NEXT) | instid1(VALU_DEP_2)
	v_fma_f16 v64, 0x39e9, v115, v133
	v_fma_f16 v132, v108, 0xb461, -v127
	v_fmac_f16_e32 v127, 0xb461, v108
	s_delay_alu instid0(VALU_DEP_3) | instskip(SKIP_1) | instid1(VALU_DEP_1)
	v_add_f16_e32 v64, v64, v75
	v_mul_f16_e32 v75, 0x35c8, v98
	v_fma_f16 v66, v6, 0x3b76, -v75
	v_fmac_f16_e32 v75, 0x3b76, v6
	s_delay_alu instid0(VALU_DEP_2) | instskip(SKIP_1) | instid1(VALU_DEP_3)
	v_add_f16_e32 v66, v66, v71
	v_mul_f16_e32 v71, 0xba62, v104
	v_add_f16_e32 v69, v75, v69
	v_fma_f16 v75, v115, 0x39e9, -v133
	v_mov_b32_e32 v133, v154
	s_delay_alu instid0(VALU_DEP_4) | instskip(NEXT) | instid1(VALU_DEP_3)
	v_fma_f16 v68, 0xb8d2, v168, v71
	v_add_f16_e32 v29, v75, v29
	v_mul_f16_e64 v75, 0x3bf7, v173
	s_delay_alu instid0(VALU_DEP_3) | instskip(SKIP_1) | instid1(VALU_DEP_1)
	v_add_f16_e32 v64, v68, v64
	v_mul_f16_e32 v68, 0xb836, v101
	v_fma_f16 v70, v95, 0xbacd, -v68
	v_fmac_f16_e32 v68, 0xbacd, v95
	s_delay_alu instid0(VALU_DEP_2) | instskip(SKIP_1) | instid1(VALU_DEP_3)
	v_add_f16_e32 v66, v70, v66
	v_mul_f16_e32 v70, 0x3b29, v107
	v_add_f16_e32 v68, v68, v69
	v_fma_f16 v69, v168, 0xb8d2, -v71
	v_fma_f16 v71, v172, 0xbbdd, -v255
	s_delay_alu instid0(VALU_DEP_4) | instskip(NEXT) | instid1(VALU_DEP_3)
	v_fma_f16 v134, 0x3722, v172, v70
	v_add_f16_e32 v29, v69, v29
	v_fma_f16 v69, v172, 0x3722, -v70
	v_fma_f16 v70, v105, 0x3722, -v248
	s_delay_alu instid0(VALU_DEP_4) | instskip(SKIP_1) | instid1(VALU_DEP_4)
	v_add_f16_e64 v64, v134, v64
	v_mul_f16_e64 v134, 0x3964, v106
	v_add_f16_e32 v29, v69, v29
	v_fma_f16 v69, v99, 0xbacd, -v246
	s_delay_alu instid0(VALU_DEP_3) | instskip(SKIP_1) | instid1(VALU_DEP_3)
	v_fma_f16 v135, v97, 0x39e9, -v134
	v_fmac_f16_e64 v134, 0x39e9, v97
	v_add_f16_e32 v69, v55, v69
	s_delay_alu instid0(VALU_DEP_3) | instskip(SKIP_1) | instid1(VALU_DEP_4)
	v_add_f16_e64 v66, v135, v66
	v_mul_f16_e64 v135, 0xbbb2, v114
	v_add_f16_e64 v68, v134, v68
	s_delay_alu instid0(VALU_DEP_4) | instskip(SKIP_1) | instid1(VALU_DEP_4)
	v_add_f16_e32 v69, v70, v69
	v_dual_mov_b32 v134, v155 :: v_dual_mov_b32 v155, v171
	v_fma_f16 v136, 0xb461, v178, v135
	v_fma_f16 v70, v178, 0xb461, -v135
	s_delay_alu instid0(VALU_DEP_2) | instskip(SKIP_1) | instid1(VALU_DEP_3)
	v_add_f16_e64 v64, v136, v64
	v_mul_f16_e64 v136, 0xba62, v110
	v_add_f16_e32 v29, v70, v29
	v_fma_f16 v70, v109, 0x2de8, -v250
	s_delay_alu instid0(VALU_DEP_3) | instskip(SKIP_1) | instid1(VALU_DEP_3)
	v_fma_f16 v138, v102, 0xb8d2, -v136
	v_fmac_f16_e64 v136, 0xb8d2, v102
	v_add_f16_e32 v69, v70, v69
	s_delay_alu instid0(VALU_DEP_3) | instskip(SKIP_1) | instid1(VALU_DEP_4)
	v_add_f16_e64 v66, v138, v66
	v_mul_f16_e64 v138, 0x3bf7, v145
	v_add_f16_e64 v68, v136, v68
	v_dual_mov_b32 v136, v157 :: v_dual_mov_b32 v157, v175
	v_mov_b32_e32 v154, v170
	s_delay_alu instid0(VALU_DEP_4) | instskip(SKIP_2) | instid1(VALU_DEP_3)
	v_fma_f16 v70, v179, 0x2de8, -v138
	v_fma_f16 v139, 0x2de8, v179, v138
	v_dual_mov_b32 v138, v159 :: v_dual_mov_b32 v159, v177
	v_add_f16_e32 v29, v70, v29
	v_fma_f16 v70, v115, 0xb8d2, -v251
	s_delay_alu instid0(VALU_DEP_4) | instskip(SKIP_1) | instid1(VALU_DEP_3)
	v_add_f16_e64 v64, v139, v64
	v_mul_f16_e64 v139, 0x3b29, v116
	v_add_f16_e32 v69, v70, v69
	v_fma_f16 v70, v168, 0x3b76, -v253
	s_delay_alu instid0(VALU_DEP_3) | instskip(SKIP_1) | instid1(VALU_DEP_3)
	v_fma_f16 v140, v103, 0x3722, -v139
	v_fmac_f16_e64 v139, 0x3722, v103
	v_add_f16_e32 v69, v70, v69
	v_add_f16_e64 v70, v252, v73
	v_fma_f16 v73, v105, 0xb461, -v232
	v_add_f16_e64 v66, v140, v66
	v_add_f16_e64 v68, v139, v68
	v_add_f16_e32 v69, v71, v69
	v_fma_f16 v71, v178, 0x39e9, -v123
	v_mul_f16_e32 v123, 0xb964, v62
	v_add_f16_e64 v66, v132, v66
	v_fma_f16 v132, v113, 0x2de8, -v75
	v_add_f16_e32 v68, v127, v68
	v_add_f16_e32 v69, v71, v69
	v_fma_f16 v71, v99, 0xb8d2, -v231
	v_fmac_f16_e32 v75, 0x2de8, v113
	v_add_f16_e64 v70, v254, v70
	v_add_f16_e64 v66, v132, v66
	v_mov_b32_e32 v132, v153
	v_add_f16_e32 v71, v55, v71
	v_add_f16_e32 v68, v75, v68
	v_fma_f16 v75, v168, 0x2de8, -v237
	v_add_f16_e64 v70, v247, v70
	v_mov_b32_e32 v153, v167
	v_add_f16_e32 v71, v73, v71
	v_fma_f16 v73, v179, 0xb461, -v129
	v_dual_mov_b32 v129, v150 :: v_dual_mov_b32 v150, v111
	v_sub_f16_e64 v111, v187, v123
	v_mul_f16_e32 v123, 0xbbf7, v42
	s_delay_alu instid0(VALU_DEP_4)
	v_add_f16_e32 v69, v73, v69
	v_fma_f16 v73, v109, 0x3b76, -v88
	v_fma_f16 v88, v172, 0xbacd, -v210
	v_add_f16_e32 v111, v55, v111
	v_sub_f16_e32 v123, v76, v123
	v_dual_mov_b32 v140, v161 :: v_dual_mov_b32 v135, v156
	v_add_f16_e32 v71, v73, v71
	v_fma_f16 v73, v115, 0xbacd, -v235
	s_delay_alu instid0(VALU_DEP_4)
	v_add_f16_e32 v111, v123, v111
	v_mul_f16_e32 v123, 0xba62, v96
	v_mov_b32_e32 v161, v181
	v_add_f16_e64 v70, v128, v70
	v_add_f16_e32 v71, v73, v71
	v_add_f16_e64 v73, v236, v78
	v_fma_f16 v78, v105, 0xbacd, -v218
	v_sub_f16_e64 v123, v148, v123
	v_mul_f16_e32 v127, 0x2de8, v6
	v_add_f16_e32 v71, v75, v71
	v_fma_f16 v75, v172, 0x39e9, -v239
	v_mov_b32_e32 v156, v174
	v_add_f16_e64 v70, v130, v70
	v_dual_mov_b32 v130, v151 :: v_dual_mov_b32 v151, v112
	s_delay_alu instid0(VALU_DEP_4)
	v_add_f16_e32 v71, v75, v71
	v_fma_f16 v75, v178, 0xbbdd, -v241
	v_add_f16_e64 v112, v127, v188
	v_add_f16_e32 v111, v123, v111
	v_mul_f16_e32 v123, 0xb1e1, v100
	v_add_f16_e64 v73, v238, v73
	v_add_f16_e32 v71, v75, v71
	v_fma_f16 v75, v179, 0x3722, -v243
	v_add_f16_e32 v67, v112, v67
	v_sub_f16_e32 v123, v72, v123
	v_mul_f16_e32 v112, 0xb8d2, v95
	v_mul_f16_e64 v72, 0xb461, v172
	v_add_f16_e32 v71, v75, v71
	v_fma_f16 v75, v99, 0xb461, -v217
	v_add_f16_e32 v111, v123, v111
	v_add_f16_e64 v112, v112, v190
	v_mul_f16_e32 v123, 0x3836, v104
	v_add_f16_e64 v73, v240, v73
	v_add_f16_e32 v75, v55, v75
	v_add_f16_e64 v70, v131, v70
	v_add_f16_e32 v67, v112, v67
	v_sub_f16_e64 v123, v193, v123
	v_mul_f16_e32 v112, 0xbbdd, v97
	v_add_f16_e32 v75, v78, v75
	v_fma_f16 v78, v109, 0x39e9, -v91
	v_fma_f16 v91, v178, 0xb8d2, -v212
	v_add_f16_e32 v111, v123, v111
	v_add_f16_e64 v112, v112, v189
	v_mul_f16_e32 v123, 0x3bb2, v107
	v_add_f16_e32 v75, v78, v75
	v_add_f16_e64 v78, v221, v82
	v_fma_f16 v82, v115, 0x3722, -v220
	v_add_f16_e32 v67, v112, v67
	v_sub_f16_e32 v123, v72, v123
	v_mul_f16_e32 v112, 0xbacd, v102
	v_mul_f16_e32 v72, 0x3836, v110
	v_add_f16_e32 v75, v82, v75
	v_fma_f16 v82, v168, 0xbbdd, -v222
	v_add_f16_e64 v78, v223, v78
	v_add_f16_e64 v73, v242, v73
	v_add_f16_e32 v112, v112, v72
	v_mul_f16_e64 v72, 0x3722, v178
	v_add_f16_e32 v75, v82, v75
	v_fma_f16 v82, v172, 0x2de8, -v224
	v_add_f16_e64 v78, v225, v78
	v_add_f16_e32 v67, v112, v67
	v_add_f16_e64 v73, v244, v73
	v_add_f16_e64 v70, v137, v70
	v_add_f16_e32 v75, v82, v75
	v_fma_f16 v82, v99, 0x2de8, -v87
	v_fma_f16 v87, v105, 0xbbdd, -v204
	v_mul_f16_e32 v99, 0x3b76, v99
	v_add_f16_e64 v78, v227, v78
	v_add_f16_e64 v73, v245, v73
	v_add_f16_e32 v82, v55, v82
	v_pack_b32_f16 v11, v70, v69
	v_mov_b32_e32 v246, v142
	v_add_f16_e64 v78, v229, v78
	v_add_f16_e64 v73, v249, v73
	v_add_f16_e32 v82, v87, v82
	v_fma_f16 v87, v178, 0x3b76, -v226
	v_mov_b32_e32 v139, v160
	v_add_f16_e64 v78, v230, v78
	v_dual_mov_b32 v160, v180 :: v_dual_mov_b32 v131, v152
	s_delay_alu instid0(VALU_DEP_4)
	v_add_f16_e32 v75, v87, v75
	v_fma_f16 v87, v109, 0xb461, -v205
	v_mul_f16_e32 v109, 0x3722, v109
	v_add_f16_e64 v78, v234, v78
	v_mov_b32_e32 v128, v144
	v_dual_mov_b32 v144, v165 :: v_dual_mov_b32 v127, v143
	v_add_f16_e32 v82, v87, v82
	v_fma_f16 v87, v179, 0xb8d2, -v228
	v_dual_mov_b32 v165, v185 :: v_dual_mov_b32 v152, v146
	v_dual_mov_b32 v137, v158 :: v_dual_mov_b32 v158, v176
	s_delay_alu instid0(VALU_DEP_3) | instskip(SKIP_3) | instid1(VALU_DEP_3)
	v_add_f16_e32 v75, v87, v75
	v_fma_f16 v87, v115, 0x3b76, -v206
	v_dual_mov_b32 v245, v141 :: v_dual_mov_b32 v142, v183
	v_dual_mov_b32 v141, v162 :: v_dual_mov_b32 v162, v182
	v_add_f16_e32 v82, v87, v82
	v_fma_f16 v87, v168, 0x3722, -v208
	v_dual_mov_b32 v143, v164 :: v_dual_mov_b32 v164, v184
	v_mov_b32_e32 v148, v166
	v_mov_b32_e32 v166, v186
	s_delay_alu instid0(VALU_DEP_4) | instskip(SKIP_1) | instid1(VALU_DEP_2)
	v_add_f16_e32 v82, v87, v82
	v_mul_f16_e32 v87, 0xbb29, v62
	v_add_f16_e32 v82, v88, v82
	s_delay_alu instid0(VALU_DEP_2)
	v_sub_f16_e32 v87, v74, v87
	v_mul_f16_e32 v88, 0xba62, v42
	v_mul_f16_e32 v74, 0xb8d2, v105
	;; [unrolled: 1-line block ×3, first 2 shown]
	v_add_f16_e32 v82, v91, v82
	v_fma_f16 v91, v179, 0x39e9, -v214
	v_add_f16_e32 v87, v55, v87
	v_sub_f16_e32 v88, v74, v88
	v_mul_f16_e32 v74, 0xba62, v98
	v_fmamk_f16 v112, v42, 0x3964, v105
	v_add_f16_e32 v82, v91, v82
	v_mul_f16_e32 v91, 0xb8d2, v6
	v_add_f16_e32 v87, v88, v87
	v_mul_f16_e32 v88, 0x31e1, v96
	v_fmac_f16_e32 v105, 0xb964, v42
	v_mul_f16_e64 v42, 0xb836, v169
	v_add_f16_e32 v91, v91, v74
	v_mul_f16_e32 v74, 0x31e1, v101
	v_sub_f16_e64 v88, v195, v88
	s_delay_alu instid0(VALU_DEP_3) | instskip(SKIP_1) | instid1(VALU_DEP_3)
	v_add_f16_e32 v65, v91, v65
	v_mul_f16_e32 v91, 0xbbdd, v95
	v_add_f16_e32 v87, v88, v87
	v_mul_f16_e32 v88, 0x3bb2, v100
	s_delay_alu instid0(VALU_DEP_3) | instskip(NEXT) | instid1(VALU_DEP_2)
	v_add_f16_e32 v91, v91, v74
	v_sub_f16_e64 v88, v199, v88
	s_delay_alu instid0(VALU_DEP_2) | instskip(SKIP_1) | instid1(VALU_DEP_3)
	v_add_f16_e32 v65, v91, v65
	v_mul_f16_e32 v91, 0xb461, v97
	v_add_f16_e32 v87, v88, v87
	v_mul_f16_e32 v88, 0x3964, v104
	s_delay_alu instid0(VALU_DEP_3) | instskip(NEXT) | instid1(VALU_DEP_2)
	v_add_f16_e64 v91, v91, v196
	v_sub_f16_e32 v88, v118, v88
	s_delay_alu instid0(VALU_DEP_2) | instskip(SKIP_1) | instid1(VALU_DEP_3)
	v_add_f16_e32 v65, v91, v65
	v_mul_f16_e32 v91, 0x39e9, v102
	v_add_f16_e32 v87, v88, v87
	v_mul_f16_e32 v88, 0xb5c8, v107
	s_delay_alu instid0(VALU_DEP_3) | instskip(NEXT) | instid1(VALU_DEP_2)
	v_add_f16_e64 v91, v91, v198
	v_sub_f16_e32 v88, v80, v88
	;; [unrolled: 8-line block ×3, first 2 shown]
	s_delay_alu instid0(VALU_DEP_2) | instskip(SKIP_1) | instid1(VALU_DEP_3)
	v_add_f16_e32 v65, v91, v65
	v_mul_f16_e32 v91, 0x2de8, v108
	v_add_f16_e32 v87, v88, v87
	v_mul_f16_e64 v88, 0xb836, v145
	s_delay_alu instid0(VALU_DEP_3) | instskip(NEXT) | instid1(VALU_DEP_2)
	v_add_f16_e32 v91, v91, v81
	v_sub_f16_e32 v88, v86, v88
	s_delay_alu instid0(VALU_DEP_2) | instskip(SKIP_1) | instid1(VALU_DEP_3)
	v_add_f16_e32 v65, v91, v65
	v_mul_f16_e32 v91, 0xbacd, v113
	v_add_f16_e32 v87, v88, v87
	v_add_f16_e32 v88, v123, v111
	v_fmamk_f16 v111, v62, 0x35c8, v99
	v_fmamk_f16 v123, v96, 0x3b29, v109
	v_add_f16_e32 v91, v91, v89
	v_fmac_f16_e32 v99, 0xb5c8, v62
	v_fmac_f16_e32 v109, 0xbb29, v96
	v_add_f16_e32 v111, v55, v111
	s_delay_alu instid0(VALU_DEP_4) | instskip(SKIP_2) | instid1(VALU_DEP_4)
	v_add_f16_e32 v65, v91, v65
	v_mul_f16_e32 v91, 0xb461, v103
	v_add_f16_e32 v10, v55, v99
	v_add_f16_e32 v111, v112, v111
	v_mul_f16_e32 v112, 0x3b29, v114
	v_pack_b32_f16 v7, v65, v87
	v_add_f16_e32 v91, v91, v77
	v_add_f16_e32 v10, v105, v10
	;; [unrolled: 1-line block ×3, first 2 shown]
	v_sub_f16_e32 v112, v72, v112
	v_mul_f16_e64 v72, 0x3b29, v169
	v_add_f16_e32 v67, v91, v67
	v_mul_f16_e32 v91, 0x3722, v108
	v_add_f16_e32 v9, v109, v10
	v_add_f16_e32 v88, v112, v88
	v_mul_f16_e64 v112, 0x35c8, v145
	v_fma_f16 v10, v95, 0x3722, -v51
	v_add_f16_e32 v91, v91, v72
	v_mul_f16_e64 v72, 0x35c8, v173
	s_delay_alu instid0(VALU_DEP_4) | instskip(SKIP_1) | instid1(VALU_DEP_4)
	v_sub_f16_e32 v112, v94, v112
	v_fmamk_f16 v94, v6, 0x39e9, v57
	v_add_f16_e32 v67, v91, v67
	v_mul_f16_e32 v91, 0x2de8, v115
	v_fma_f16 v6, v6, 0x39e9, -v57
	v_add_f16_e32 v88, v112, v88
	v_add_f16_e32 v92, v94, v92
	v_mul_f16_e64 v112, 0xb461, v168
	v_fmamk_f16 v115, v100, 0x3bf7, v91
	v_fmac_f16_e32 v91, 0xbbf7, v100
	v_add_f16_e64 v6, v6, v201
	v_add_f16_e32 v58, v58, v92
	v_fmamk_f16 v123, v104, 0x3bb2, v112
	v_add_f16_e32 v111, v115, v111
	v_mul_f16_e32 v115, 0x3b76, v113
	v_add_f16_e32 v9, v91, v9
	v_add_f16_e32 v58, v60, v58
	v_fmac_f16_e32 v112, 0xbbb2, v104
	v_add_f16_e32 v6, v10, v6
	v_add_f16_e32 v115, v115, v72
	v_fma_f16 v10, v97, 0x2de8, -v49
	v_add_f16_e32 v111, v123, v111
	v_add_f16_e32 v52, v52, v58
	;; [unrolled: 1-line block ×4, first 2 shown]
	v_mul_f16_e64 v115, 0xb8d2, v172
	v_add_f16_e32 v6, v10, v6
	v_fma_f16 v10, v102, 0xb461, -v50
	v_add_f16_e32 v47, v47, v52
	v_fmamk_f16 v52, v108, 0xbacd, v42
	v_fmamk_f16 v123, v107, 0x3a62, v115
	v_fmac_f16_e32 v115, 0xba62, v107
	v_add_f16_e32 v6, v10, v6
	v_pack_b32_f16 v10, v73, v71
	v_add_f16_e32 v47, v52, v47
	v_add_f16_e32 v111, v123, v111
	;; [unrolled: 1-line block ×3, first 2 shown]
	v_fmamk_f16 v52, v113, 0xbbdd, v48
	v_pack_b32_f16 v9, v78, v75
	v_mov_b32_e32 v123, v192
	v_add_f16_e32 v59, v59, v111
	v_add_f16_e32 v4, v56, v5
	;; [unrolled: 1-line block ×3, first 2 shown]
	v_fma_f16 v6, v108, 0xbacd, -v42
	v_add_f16_e32 v47, v52, v47
	v_add_f16_e32 v54, v54, v59
	;; [unrolled: 1-line block ×3, first 2 shown]
	v_pack_b32_f16 v8, v83, v82
	v_add_f16_e32 v4, v6, v5
	v_fma_f16 v5, v113, 0xbbdd, -v48
	v_pack_b32_f16 v2, v47, v54
	v_pack_b32_f16 v6, v67, v88
	ds_store_2addr_b32 v1, v0, v2 offset1:2
	ds_store_2addr_b32 v1, v6, v7 offset0:4 offset1:6
	ds_store_2addr_b32 v1, v8, v9 offset0:8 offset1:10
	ds_store_2addr_b32 v1, v10, v11 offset0:12 offset1:14
	v_add_f16_e32 v4, v5, v4
	v_pack_b32_f16 v0, v68, v29
	v_pack_b32_f16 v2, v66, v64
	;; [unrolled: 1-line block ×3, first 2 shown]
	v_mov_b32_e32 v117, v191
	v_pack_b32_f16 v6, v79, v233
	v_pack_b32_f16 v7, v203, v202
	;; [unrolled: 1-line block ×3, first 2 shown]
	v_perm_b32 v9, v15, v14, 0x5040100
	v_perm_b32 v10, v41, v40, 0x5040100
	v_pack_b32_f16 v3, v4, v3
	ds_store_2addr_b32 v1, v0, v2 offset0:16 offset1:18
	ds_store_2addr_b32 v1, v5, v6 offset0:20 offset1:22
	;; [unrolled: 1-line block ×4, first 2 shown]
	ds_store_b32 v1, v3 offset:128
.LBB0_25:
	s_wait_alu 0xfffe
	s_or_b32 exec_lo, exec_lo, s1
	v_add_nc_u32_e32 v2, 0x400, v63
	v_add_nc_u32_e32 v3, 0x800, v63
	;; [unrolled: 1-line block ×4, first 2 shown]
	global_wb scope:SCOPE_SE
	s_wait_dscnt 0x0
	s_barrier_signal -1
	s_barrier_wait -1
	global_inv scope:SCOPE_SE
	ds_load_2addr_b32 v[6:7], v63 offset1:68
	ds_load_2addr_b32 v[0:1], v2 offset0:152 offset1:254
	ds_load_2addr_b32 v[12:13], v3 offset0:66 offset1:134
	;; [unrolled: 1-line block ×6, first 2 shown]
	s_and_saveexec_b32 s0, vcc_lo
	s_cbranch_execz .LBB0_27
; %bb.26:
	ds_load_b32 v14, v63 offset:1904
	ds_load_b32 v40, v63 offset:3944
	s_wait_dscnt 0x1
	v_lshrrev_b32_e32 v15, 16, v14
	s_wait_dscnt 0x0
	v_lshrrev_b32_e32 v41, 16, v40
.LBB0_27:
	s_wait_alu 0xfffe
	s_or_b32 exec_lo, exec_lo, s0
	s_wait_dscnt 0x5
	v_lshrrev_b32_e32 v29, 16, v1
	s_wait_dscnt 0x4
	v_lshrrev_b32_e32 v44, 16, v12
	;; [unrolled: 2-line block ×3, first 2 shown]
	v_mul_f16_e64 v54, v142, v1
	v_lshrrev_b32_e32 v46, 16, v13
	v_mul_f16_e64 v53, v142, v29
	v_mul_f16_e64 v56, v143, v44
	v_lshrrev_b32_e32 v50, 16, v11
	v_mul_f16_e64 v58, v140, v48
	s_wait_dscnt 0x0
	v_lshrrev_b32_e32 v57, 16, v9
	v_fmac_f16_e32 v53, v125, v1
	v_fma_f16 v1, v125, v29, -v54
	v_mul_f16_e64 v29, v143, v12
	v_fmac_f16_e32 v56, v126, v12
	v_mul_f16_e64 v12, v141, v46
	v_mul_f16_e64 v54, v141, v13
	v_fmac_f16_e32 v58, v122, v10
	v_fma_f16 v29, v126, v44, -v29
	v_mul_f16_e64 v44, v140, v10
	v_mul_f16_e64 v10, v136, v50
	v_lshrrev_b32_e32 v52, 16, v8
	v_fmac_f16_e32 v12, v124, v13
	v_fma_f16 v13, v124, v46, -v54
	v_mul_f16_e64 v46, v136, v11
	v_lshrrev_b32_e32 v28, 16, v6
	v_fmac_f16_e32 v10, v121, v11
	v_mul_f16_e64 v11, v134, v57
	v_lshrrev_b32_e32 v43, 16, v7
	v_fma_f16 v44, v122, v48, -v44
	v_mul_f16_e64 v48, v135, v52
	v_mul_f16_e64 v54, v135, v8
	v_fma_f16 v46, v121, v50, -v46
	v_mul_f16_e64 v50, v134, v9
	v_lshrrev_b32_e32 v45, 16, v4
	v_fmac_f16_e32 v11, v119, v9
	v_sub_f16_e32 v9, v6, v53
	v_sub_f16_e32 v1, v28, v1
	v_lshrrev_b32_e32 v47, 16, v5
	v_fmac_f16_e32 v48, v120, v8
	v_fma_f16 v8, v120, v52, -v54
	v_sub_f16_e32 v52, v7, v56
	v_sub_f16_e32 v29, v43, v29
	v_lshrrev_b32_e32 v49, 16, v2
	v_lshrrev_b32_e32 v51, 16, v3
	;; [unrolled: 1-line block ×3, first 2 shown]
	v_fma_f16 v50, v119, v57, -v50
	v_fma_f16 v6, v6, 2.0, -v9
	v_fma_f16 v28, v28, 2.0, -v1
	v_sub_f16_e32 v12, v4, v12
	v_sub_f16_e32 v13, v45, v13
	v_fma_f16 v7, v7, 2.0, -v52
	v_fma_f16 v43, v43, 2.0, -v29
	v_sub_f16_e32 v53, v5, v58
	v_sub_f16_e32 v44, v47, v44
	;; [unrolled: 1-line block ×8, first 2 shown]
	v_fma_f16 v4, v4, 2.0, -v12
	v_fma_f16 v45, v45, 2.0, -v13
	v_pack_b32_f16 v6, v6, v28
	v_pack_b32_f16 v1, v9, v1
	v_fma_f16 v5, v5, 2.0, -v53
	v_fma_f16 v47, v47, 2.0, -v44
	v_pack_b32_f16 v7, v7, v43
	v_pack_b32_f16 v9, v52, v29
	v_fma_f16 v2, v2, 2.0, -v10
	v_fma_f16 v49, v49, 2.0, -v46
	;; [unrolled: 1-line block ×6, first 2 shown]
	v_add_nc_u32_e32 v42, 0x110, v63
	v_add_nc_u32_e32 v39, 0x220, v63
	global_wb scope:SCOPE_SE
	s_barrier_signal -1
	s_barrier_wait -1
	global_inv scope:SCOPE_SE
	ds_store_2addr_b32 v129, v6, v1 offset1:34
	ds_store_2addr_b32 v133, v7, v9 offset1:34
	v_pack_b32_f16 v1, v4, v45
	v_pack_b32_f16 v4, v12, v13
	;; [unrolled: 1-line block ×10, first 2 shown]
	ds_store_2addr_b32 v117, v1, v4 offset1:34
	ds_store_2addr_b32 v123, v5, v6 offset1:34
	;; [unrolled: 1-line block ×5, first 2 shown]
	s_and_saveexec_b32 s0, vcc_lo
	s_cbranch_execz .LBB0_29
; %bb.28:
	v_mul_f16_e64 v0, v130, v41
	v_mul_f16_e64 v1, v130, v40
	v_lshl_add_u32 v4, v128, 2, v93
	s_delay_alu instid0(VALU_DEP_3) | instskip(NEXT) | instid1(VALU_DEP_3)
	v_fmac_f16_e32 v0, v90, v40
	v_fma_f16 v1, v90, v41, -v1
	s_delay_alu instid0(VALU_DEP_2) | instskip(NEXT) | instid1(VALU_DEP_2)
	v_sub_f16_e32 v0, v14, v0
	v_sub_f16_e32 v1, v15, v1
	s_delay_alu instid0(VALU_DEP_2) | instskip(NEXT) | instid1(VALU_DEP_2)
	v_fma_f16 v2, v14, 2.0, -v0
	v_fma_f16 v3, v15, 2.0, -v1
	v_pack_b32_f16 v0, v0, v1
	s_delay_alu instid0(VALU_DEP_2)
	v_pack_b32_f16 v1, v2, v3
	v_add_nc_u32_e32 v2, 0xc00, v4
	ds_store_2addr_b32 v2, v1, v0 offset0:184 offset1:218
.LBB0_29:
	s_wait_alu 0xfffe
	s_or_b32 exec_lo, exec_lo, s0
	v_add_nc_u32_e32 v3, 0x400, v63
	global_wb scope:SCOPE_SE
	s_wait_dscnt 0x0
	s_barrier_signal -1
	s_barrier_wait -1
	global_inv scope:SCOPE_SE
	ds_load_2addr_b32 v[0:1], v63 offset1:68
	ds_load_2addr_b32 v[5:6], v63 offset0:136 offset1:204
	ds_load_2addr_b32 v[7:8], v3 offset0:16 offset1:84
	ds_load_b32 v15, v63 offset:3808
	v_add_nc_u32_e32 v4, 0x800, v63
	v_add_nc_u32_e32 v2, 0xc00, v63
	ds_load_2addr_b32 v[9:10], v4 offset0:168 offset1:236
	ds_load_2addr_b32 v[11:12], v3 offset0:152 offset1:220
	;; [unrolled: 1-line block ×4, first 2 shown]
	global_wb scope:SCOPE_SE
	s_wait_dscnt 0x0
	s_barrier_signal -1
	s_barrier_wait -1
	global_inv scope:SCOPE_SE
	s_mov_b32 s10, 0x10101010
	s_mov_b32 s11, 0x3f501010
	v_lshrrev_b32_e32 v43, 16, v5
	v_lshrrev_b32_e32 v46, 16, v8
	v_mul_f16_e64 v55, v149, v8
	v_lshrrev_b32_e32 v45, 16, v15
	v_lshrrev_b32_e32 v28, 16, v0
	;; [unrolled: 1-line block ×4, first 2 shown]
	v_mul_f16_e64 v56, v149, v46
	v_lshrrev_b32_e32 v49, 16, v10
	v_lshrrev_b32_e32 v50, 16, v12
	v_mul_f16_e64 v58, v147, v47
	v_lshrrev_b32_e32 v51, 16, v13
	v_fmac_f16_e32 v56, v31, v8
	v_mul_f16_e64 v8, v149, v48
	v_mul_f16_e64 v59, v147, v9
	v_fma_f16 v46, v31, v46, -v55
	v_fmac_f16_e32 v58, v32, v9
	v_mul_f16_e64 v9, v149, v11
	v_mul_f16_e64 v55, v147, v49
	v_fmac_f16_e32 v8, v31, v11
	v_mul_f16_e64 v11, v147, v10
	v_lshrrev_b32_e32 v52, 16, v40
	v_fma_f16 v47, v32, v47, -v59
	v_fma_f16 v9, v31, v48, -v9
	v_mul_f16_e64 v31, v154, v50
	v_fmac_f16_e32 v55, v32, v10
	v_mul_f16_e64 v10, v154, v12
	v_fma_f16 v11, v32, v49, -v11
	v_mul_f16_e64 v32, v153, v51
	v_lshrrev_b32_e32 v53, 16, v14
	v_lshrrev_b32_e32 v57, 16, v41
	v_fmac_f16_e32 v31, v37, v12
	v_mul_f16_e64 v12, v153, v13
	v_fma_f16 v10, v37, v50, -v10
	v_mul_f16_e64 v37, v152, v52
	v_fmac_f16_e32 v32, v38, v13
	v_mul_f16_e64 v13, v152, v40
	v_fma_f16 v12, v38, v51, -v12
	v_mul_f16_e64 v38, v151, v53
	;; [unrolled: 4-line block ×4, first 2 shown]
	v_fmac_f16_e32 v35, v33, v41
	v_mul_f16_e64 v41, v148, v15
	v_fma_f16 v14, v33, v57, -v14
	v_add_f16_e32 v33, v56, v58
	v_fmac_f16_e32 v40, v34, v15
	v_add_f16_e32 v15, v0, v56
	v_fma_f16 v34, v34, v45, -v41
	v_add_f16_e32 v41, v46, v47
	v_fma_f16 v0, -0.5, v33, v0
	v_sub_f16_e32 v33, v46, v47
	v_add_f16_e32 v45, v28, v46
	v_lshrrev_b32_e32 v29, 16, v1
	v_fmac_f16_e32 v28, -0.5, v41
	v_sub_f16_e32 v41, v56, v58
	v_fmamk_f16 v46, v33, 0xbaee, v0
	v_fmac_f16_e32 v0, 0x3aee, v33
	v_add_f16_e32 v33, v45, v47
	v_add_f16_e32 v45, v8, v55
	v_fmamk_f16 v47, v41, 0x3aee, v28
	v_fmac_f16_e32 v28, 0xbaee, v41
	v_add_f16_e32 v41, v9, v11
	v_add_f16_e32 v48, v1, v8
	v_fmac_f16_e32 v1, -0.5, v45
	v_sub_f16_e32 v45, v9, v11
	v_add_f16_e32 v9, v29, v9
	v_fmac_f16_e32 v29, -0.5, v41
	v_sub_f16_e32 v8, v8, v55
	v_add_f16_e32 v49, v5, v31
	v_fmamk_f16 v41, v45, 0xbaee, v1
	v_fmac_f16_e32 v1, 0x3aee, v45
	v_add_f16_e32 v9, v9, v11
	v_add_f16_e32 v11, v31, v32
	v_fmamk_f16 v45, v8, 0x3aee, v29
	v_fmac_f16_e32 v29, 0xbaee, v8
	v_add_f16_e32 v8, v10, v12
	v_lshrrev_b32_e32 v44, 16, v6
	v_fma_f16 v5, -0.5, v11, v5
	v_sub_f16_e32 v11, v10, v12
	v_add_f16_e32 v10, v43, v10
	v_fmac_f16_e32 v43, -0.5, v8
	v_sub_f16_e32 v8, v31, v32
	v_add_f16_e32 v49, v49, v32
	v_fmamk_f16 v31, v11, 0xbaee, v5
	v_fmac_f16_e32 v5, 0x3aee, v11
	v_add_f16_e32 v10, v10, v12
	v_add_f16_e32 v11, v37, v38
	v_fmamk_f16 v12, v8, 0x3aee, v43
	v_fmac_f16_e32 v43, 0xbaee, v8
	v_add_f16_e32 v8, v13, v36
	v_add_f16_e32 v32, v6, v37
	v_fmac_f16_e32 v6, -0.5, v11
	v_sub_f16_e32 v11, v13, v36
	v_add_f16_e32 v13, v44, v13
	v_fmac_f16_e32 v44, -0.5, v8
	v_sub_f16_e32 v8, v37, v38
	v_lshrrev_b32_e32 v54, 16, v7
	v_fmamk_f16 v37, v11, 0xbaee, v6
	v_fmac_f16_e32 v6, 0x3aee, v11
	v_add_f16_e32 v11, v13, v36
	v_add_f16_e32 v13, v35, v40
	v_fmamk_f16 v36, v8, 0x3aee, v44
	v_fmac_f16_e32 v44, 0xbaee, v8
	v_add_f16_e32 v8, v14, v34
	v_add_f16_e32 v15, v15, v58
	;; [unrolled: 1-line block ×4, first 2 shown]
	v_fmac_f16_e32 v7, -0.5, v13
	v_sub_f16_e32 v13, v14, v34
	v_add_f16_e32 v14, v54, v14
	v_fmac_f16_e32 v54, -0.5, v8
	v_sub_f16_e32 v8, v35, v40
	v_add_f16_e32 v48, v48, v55
	v_add_f16_e32 v35, v38, v40
	v_fmamk_f16 v38, v13, 0xbaee, v7
	v_fmac_f16_e32 v7, 0x3aee, v13
	v_add_f16_e32 v13, v14, v34
	v_fmamk_f16 v14, v8, 0x3aee, v54
	v_fmac_f16_e32 v54, 0xbaee, v8
	v_pack_b32_f16 v8, v15, v33
	v_pack_b32_f16 v15, v46, v47
	;; [unrolled: 1-line block ×8, first 2 shown]
	v_add_nc_u32_e32 v29, 0x400, v144
	ds_store_2addr_b32 v63, v8, v15 offset1:68
	ds_store_2addr_b32 v63, v0, v9 offset0:136 offset1:204
	ds_store_2addr_b32 v3, v28, v1 offset0:16 offset1:84
	ds_store_2addr_b32 v29, v10, v12 offset0:152 offset1:220
	v_pack_b32_f16 v0, v32, v11
	v_pack_b32_f16 v1, v37, v36
	v_add_nc_u32_e32 v8, 0x800, v138
	v_pack_b32_f16 v9, v35, v13
	v_pack_b32_f16 v10, v38, v14
	v_add_nc_u32_e32 v11, 0xc00, v139
	v_pack_b32_f16 v5, v5, v43
	v_pack_b32_f16 v6, v6, v44
	;; [unrolled: 1-line block ×3, first 2 shown]
	ds_store_2addr_b32 v8, v0, v1 offset0:100 offset1:168
	ds_store_2addr_b32 v11, v9, v10 offset0:48 offset1:116
	ds_store_b32 v144, v5 offset:2176
	ds_store_b32 v138, v6 offset:2992
	;; [unrolled: 1-line block ×3, first 2 shown]
	global_wb scope:SCOPE_SE
	s_wait_dscnt 0x0
	s_barrier_signal -1
	s_barrier_wait -1
	global_inv scope:SCOPE_SE
	ds_load_2addr_b32 v[0:1], v63 offset1:68
	ds_load_2addr_b32 v[5:6], v63 offset0:136 offset1:204
	ds_load_2addr_b32 v[7:8], v3 offset0:152 offset1:220
	;; [unrolled: 1-line block ×6, first 2 shown]
	ds_load_b32 v15, v63 offset:3808
	s_wait_dscnt 0x7
	v_lshrrev_b32_e32 v28, 16, v0
	s_wait_dscnt 0x6
	v_lshrrev_b32_e32 v29, 16, v6
	;; [unrolled: 2-line block ×6, first 2 shown]
	v_mul_f16_e64 v48, v166, v29
	v_mul_f16_e64 v49, v166, v6
	v_mul_f16_e64 v50, v165, v33
	v_mul_f16_e64 v51, v165, v7
	v_mul_f16_e64 v52, v164, v34
	v_lshrrev_b32_e32 v38, 16, v8
	s_wait_dscnt 0x1
	v_lshrrev_b32_e32 v40, 16, v31
	v_fmac_f16_e32 v48, v24, v6
	v_fma_f16 v6, v24, v29, -v49
	v_fmac_f16_e32 v50, v25, v7
	v_fma_f16 v7, v25, v33, -v51
	v_fmac_f16_e32 v52, v26, v10
	v_mul_f16_e64 v10, v164, v10
	v_mul_f16_e64 v24, v163, v35
	;; [unrolled: 1-line block ×5, first 2 shown]
	v_lshrrev_b32_e32 v41, 16, v12
	v_lshrrev_b32_e32 v44, 16, v14
	v_fma_f16 v10, v26, v34, -v10
	v_fmac_f16_e32 v24, v27, v11
	v_fma_f16 v11, v27, v35, -v25
	v_fmac_f16_e32 v29, v20, v13
	v_fma_f16 v13, v20, v37, -v33
	v_mul_f16_e64 v20, v161, v38
	v_mul_f16_e64 v25, v161, v8
	;; [unrolled: 1-line block ×4, first 2 shown]
	v_lshrrev_b32_e32 v45, 16, v9
	v_mul_f16_e64 v33, v159, v41
	v_fmac_f16_e32 v20, v21, v8
	v_fma_f16 v8, v21, v38, -v25
	v_fmac_f16_e32 v26, v22, v31
	v_fma_f16 v21, v22, v40, -v27
	v_mul_f16_e64 v22, v158, v44
	v_mul_f16_e64 v25, v158, v14
	v_lshrrev_b32_e32 v46, 16, v32
	v_fmac_f16_e32 v33, v23, v12
	v_mul_f16_e64 v12, v159, v12
	v_mul_f16_e64 v27, v157, v45
	;; [unrolled: 1-line block ×3, first 2 shown]
	v_fmac_f16_e32 v22, v16, v14
	v_fma_f16 v14, v16, v44, -v25
	v_add_f16_e32 v16, v50, v52
	s_wait_dscnt 0x0
	v_lshrrev_b32_e32 v47, 16, v15
	v_fma_f16 v12, v23, v41, -v12
	v_fmac_f16_e32 v27, v17, v9
	v_fma_f16 v9, v17, v45, -v31
	v_mul_f16_e64 v17, v156, v46
	v_mul_f16_e64 v23, v156, v32
	v_add_f16_e32 v31, v0, v48
	v_fma_f16 v16, -0.5, v16, v0
	v_sub_f16_e32 v34, v6, v11
	v_mul_f16_e64 v25, v155, v47
	v_fmac_f16_e32 v17, v18, v32
	v_fma_f16 v18, v18, v46, -v23
	v_add_f16_e32 v23, v31, v50
	v_fmamk_f16 v31, v34, 0xbb9c, v16
	v_sub_f16_e32 v32, v7, v10
	v_sub_f16_e32 v35, v48, v50
	;; [unrolled: 1-line block ×3, first 2 shown]
	v_add_f16_e32 v38, v48, v24
	v_fmac_f16_e32 v16, 0x3b9c, v34
	v_fmac_f16_e32 v25, v19, v15
	v_mul_f16_e64 v15, v155, v15
	v_add_f16_e32 v23, v23, v52
	v_fmac_f16_e32 v31, 0xb8b4, v32
	v_add_f16_e32 v35, v35, v37
	v_fma_f16 v0, -0.5, v38, v0
	v_sub_f16_e32 v37, v50, v48
	v_sub_f16_e32 v38, v52, v24
	v_fmac_f16_e32 v16, 0x38b4, v32
	v_add_f16_e32 v40, v28, v6
	v_add_f16_e32 v41, v7, v10
	v_fma_f16 v15, v19, v47, -v15
	v_add_f16_e32 v19, v23, v24
	v_fmac_f16_e32 v31, 0x34f2, v35
	v_fmamk_f16 v23, v32, 0x3b9c, v0
	v_add_f16_e32 v37, v37, v38
	v_fmac_f16_e32 v0, 0xbb9c, v32
	v_add_f16_e32 v32, v40, v7
	v_fma_f16 v38, -0.5, v41, v28
	v_sub_f16_e32 v24, v48, v24
	v_fmac_f16_e32 v16, 0x34f2, v35
	v_add_f16_e32 v35, v6, v11
	v_sub_f16_e32 v41, v6, v7
	v_sub_f16_e32 v6, v7, v6
	;; [unrolled: 1-line block ×3, first 2 shown]
	v_fmac_f16_e32 v23, 0xb8b4, v34
	v_fmac_f16_e32 v0, 0x38b4, v34
	v_add_f16_e32 v32, v32, v10
	v_fmamk_f16 v34, v24, 0x3b9c, v38
	v_sub_f16_e32 v40, v50, v52
	v_sub_f16_e32 v44, v11, v10
	v_fmac_f16_e32 v28, -0.5, v35
	v_fmac_f16_e32 v38, 0xbb9c, v24
	v_add_f16_e32 v10, v20, v26
	v_add_f16_e32 v6, v6, v7
	;; [unrolled: 1-line block ×3, first 2 shown]
	v_lshrrev_b32_e32 v36, 16, v1
	v_fmac_f16_e32 v23, 0x34f2, v37
	v_fmac_f16_e32 v0, 0x34f2, v37
	v_add_f16_e32 v32, v32, v11
	v_fmac_f16_e32 v34, 0x38b4, v40
	v_add_f16_e32 v35, v41, v44
	v_fmamk_f16 v37, v40, 0xbb9c, v28
	v_fmac_f16_e32 v38, 0xb8b4, v40
	v_fma_f16 v10, -0.5, v10, v1
	v_sub_f16_e32 v11, v13, v12
	v_fmac_f16_e32 v28, 0x3b9c, v40
	v_add_f16_e32 v7, v7, v20
	v_add_f16_e32 v45, v29, v33
	v_fmac_f16_e32 v34, 0x34f2, v35
	v_fmac_f16_e32 v37, 0x38b4, v24
	v_fmac_f16_e32 v38, 0x34f2, v35
	v_fmamk_f16 v35, v11, 0xbb9c, v10
	v_sub_f16_e32 v40, v8, v21
	v_fmac_f16_e32 v28, 0xb8b4, v24
	v_add_f16_e32 v7, v7, v26
	v_fmac_f16_e32 v1, -0.5, v45
	v_fmac_f16_e32 v10, 0x3b9c, v11
	v_add_f16_e32 v45, v36, v13
	v_fmac_f16_e32 v37, 0x34f2, v6
	v_sub_f16_e32 v41, v29, v20
	v_sub_f16_e32 v44, v33, v26
	v_fmac_f16_e32 v35, 0xb8b4, v40
	v_fmac_f16_e32 v28, 0x34f2, v6
	v_add_f16_e32 v6, v7, v33
	v_fmamk_f16 v7, v40, 0x3b9c, v1
	v_fmac_f16_e32 v10, 0x38b4, v40
	v_fmac_f16_e32 v1, 0xbb9c, v40
	v_add_f16_e32 v40, v45, v8
	v_add_f16_e32 v24, v41, v44
	v_sub_f16_e32 v41, v20, v29
	v_sub_f16_e32 v44, v26, v33
	v_add_f16_e32 v46, v8, v21
	v_fmac_f16_e32 v7, 0xb8b4, v11
	v_sub_f16_e32 v29, v29, v33
	v_fmac_f16_e32 v1, 0x38b4, v11
	v_add_f16_e32 v11, v40, v21
	v_add_f16_e32 v33, v13, v12
	;; [unrolled: 1-line block ×3, first 2 shown]
	v_fma_f16 v44, -0.5, v46, v36
	v_sub_f16_e32 v20, v20, v26
	v_sub_f16_e32 v26, v13, v8
	;; [unrolled: 1-line block ×3, first 2 shown]
	v_fmac_f16_e32 v36, -0.5, v33
	v_add_f16_e32 v11, v11, v12
	v_sub_f16_e32 v8, v8, v13
	v_sub_f16_e32 v12, v21, v12
	v_fmac_f16_e32 v35, 0x34f2, v24
	v_fmac_f16_e32 v10, 0x34f2, v24
	v_fmamk_f16 v24, v29, 0x3b9c, v44
	v_fmac_f16_e32 v44, 0xbb9c, v29
	v_fmamk_f16 v33, v20, 0xbb9c, v36
	v_add_f16_e32 v8, v8, v12
	v_add_f16_e32 v12, v5, v22
	v_fmac_f16_e32 v36, 0x3b9c, v20
	v_fmac_f16_e32 v24, 0x38b4, v20
	v_add_f16_e32 v26, v26, v40
	v_add_f16_e32 v13, v27, v17
	v_fmac_f16_e32 v44, 0xb8b4, v20
	v_fmac_f16_e32 v33, 0x38b4, v29
	v_add_f16_e32 v12, v12, v27
	v_fmac_f16_e32 v36, 0xb8b4, v29
	v_add_f16_e32 v29, v22, v25
	v_lshrrev_b32_e32 v43, 16, v5
	v_fmac_f16_e32 v7, 0x34f2, v41
	v_fmac_f16_e32 v1, 0x34f2, v41
	;; [unrolled: 1-line block ×3, first 2 shown]
	v_fma_f16 v13, -0.5, v13, v5
	v_fmac_f16_e32 v44, 0x34f2, v26
	v_sub_f16_e32 v26, v9, v18
	v_sub_f16_e32 v40, v22, v27
	;; [unrolled: 1-line block ×3, first 2 shown]
	v_add_f16_e32 v12, v12, v17
	v_fmac_f16_e32 v5, -0.5, v29
	v_sub_f16_e32 v21, v14, v15
	v_fmac_f16_e32 v33, 0x34f2, v8
	v_add_f16_e32 v40, v40, v41
	v_fmac_f16_e32 v36, 0x34f2, v8
	v_add_f16_e32 v8, v12, v25
	v_fmamk_f16 v12, v26, 0x3b9c, v5
	v_sub_f16_e32 v29, v27, v22
	v_sub_f16_e32 v41, v17, v25
	v_fmac_f16_e32 v5, 0xbb9c, v26
	v_fmamk_f16 v20, v21, 0xbb9c, v13
	v_fmac_f16_e32 v13, 0x3b9c, v21
	v_fmac_f16_e32 v12, 0xb8b4, v21
	v_add_f16_e32 v29, v29, v41
	v_fmac_f16_e32 v5, 0x38b4, v21
	v_fmac_f16_e32 v20, 0xb8b4, v26
	;; [unrolled: 1-line block ×3, first 2 shown]
	v_add_f16_e32 v26, v43, v14
	v_add_f16_e32 v45, v9, v18
	v_fmac_f16_e32 v12, 0x34f2, v29
	v_fmac_f16_e32 v5, 0x34f2, v29
	v_add_f16_e32 v29, v14, v15
	v_add_f16_e32 v21, v26, v9
	v_fma_f16 v26, -0.5, v45, v43
	v_sub_f16_e32 v22, v22, v25
	v_sub_f16_e32 v17, v27, v17
	v_fmac_f16_e32 v43, -0.5, v29
	v_fmac_f16_e32 v20, 0x34f2, v40
	v_fmac_f16_e32 v13, 0x34f2, v40
	v_fmamk_f16 v25, v22, 0x3b9c, v26
	v_sub_f16_e32 v27, v14, v9
	v_sub_f16_e32 v40, v15, v18
	v_fmamk_f16 v29, v17, 0xbb9c, v43
	v_sub_f16_e32 v9, v9, v14
	v_sub_f16_e32 v14, v18, v15
	v_fmac_f16_e32 v26, 0xbb9c, v22
	v_fmac_f16_e32 v43, 0x3b9c, v17
	v_add_f16_e32 v21, v21, v18
	v_fmac_f16_e32 v25, 0x38b4, v17
	v_add_f16_e32 v27, v27, v40
	;; [unrolled: 2-line block ×3, first 2 shown]
	v_fmac_f16_e32 v26, 0xb8b4, v17
	v_fmac_f16_e32 v43, 0xb8b4, v22
	v_pack_b32_f16 v14, v19, v32
	v_add_f16_e32 v21, v21, v15
	v_pack_b32_f16 v15, v31, v34
	v_pack_b32_f16 v17, v23, v37
	v_add_nc_u32_e32 v18, 0x300, v63
	v_pack_b32_f16 v0, v0, v28
	v_pack_b32_f16 v16, v16, v38
	v_add_nc_u32_e32 v19, 0x900, v137
	v_fmac_f16_e32 v25, 0x34f2, v27
	v_fmac_f16_e32 v29, 0x34f2, v9
	;; [unrolled: 1-line block ×4, first 2 shown]
	ds_store_b32 v63, v14
	ds_store_2addr_b32 v18, v15, v17 offset0:12 offset1:216
	ds_store_2addr_b32 v19, v0, v16 offset0:36 offset1:240
	v_pack_b32_f16 v0, v6, v11
	v_pack_b32_f16 v6, v35, v24
	;; [unrolled: 1-line block ×3, first 2 shown]
	v_add_nc_u32_e32 v9, 0x300, v42
	v_pack_b32_f16 v1, v1, v36
	v_pack_b32_f16 v10, v10, v44
	v_add_nc_u32_e32 v11, 0x900, v42
	v_pack_b32_f16 v8, v8, v21
	v_pack_b32_f16 v14, v20, v25
	;; [unrolled: 1-line block ×3, first 2 shown]
	v_add_nc_u32_e32 v15, 0x300, v39
	v_pack_b32_f16 v5, v5, v43
	v_pack_b32_f16 v13, v13, v26
	v_add_nc_u32_e32 v16, 0x900, v39
	ds_store_2addr_b32 v9, v6, v7 offset0:12 offset1:216
	ds_store_2addr_b32 v11, v1, v10 offset0:36 offset1:240
	;; [unrolled: 1-line block ×5, first 2 shown]
	global_wb scope:SCOPE_SE
	s_wait_dscnt 0x0
	s_barrier_signal -1
	s_barrier_wait -1
	global_inv scope:SCOPE_SE
	s_clause 0x4
	scratch_load_b32 v9, off, off offset:80 th:TH_LOAD_LU
	scratch_load_b32 v20, off, off offset:84 th:TH_LOAD_LU
	;; [unrolled: 1-line block ×5, first 2 shown]
	ds_load_2addr_b32 v[5:6], v63 offset1:68
	s_wait_dscnt 0x0
	v_lshrrev_b32_e32 v7, 16, v5
	s_wait_loadcnt 0x4
	v_lshrrev_b32_e32 v8, 16, v9
	s_wait_loadcnt 0x3
	;; [unrolled: 2-line block ×3, first 2 shown]
	v_lshrrev_b32_e32 v24, 16, v25
	v_mul_f16_e32 v0, v8, v7
	s_delay_alu instid0(VALU_DEP_1) | instskip(SKIP_1) | instid1(VALU_DEP_2)
	v_fmac_f16_e32 v0, v9, v5
	v_mul_f16_e32 v5, v8, v5
	v_cvt_f32_f16_e32 v0, v0
	s_delay_alu instid0(VALU_DEP_2) | instskip(NEXT) | instid1(VALU_DEP_2)
	v_fma_f16 v5, v9, v7, -v5
	v_cvt_f64_f32_e32 v[0:1], v0
	s_delay_alu instid0(VALU_DEP_2) | instskip(NEXT) | instid1(VALU_DEP_1)
	v_cvt_f32_f16_e32 v5, v5
	v_cvt_f64_f32_e32 v[7:8], v5
	s_wait_alu 0xfffe
	s_delay_alu instid0(VALU_DEP_3)
	v_mul_f64_e32 v[9:10], s[10:11], v[0:1]
	ds_load_2addr_b32 v[0:1], v3 offset0:152 offset1:254
	v_mul_f64_e32 v[7:8], s[10:11], v[7:8]
	v_and_or_b32 v5, 0x1ff, v10, v9
	s_wait_dscnt 0x0
	v_lshrrev_b32_e32 v9, 16, v1
	v_lshrrev_b32_e32 v11, 8, v10
	v_bfe_u32 v13, v10, 20, 11
	v_cmp_ne_u32_e64 s0, 0, v5
	s_delay_alu instid0(VALU_DEP_4)
	v_mul_f16_e32 v12, v19, v9
	v_and_or_b32 v7, 0x1ff, v8, v7
	v_lshrrev_b32_e32 v17, 8, v8
	v_bfe_u32 v18, v8, 20, 11
	s_wait_alu 0xf1ff
	v_cndmask_b32_e64 v5, 0, 1, s0
	v_fmac_f16_e32 v12, v20, v1
	v_cmp_ne_u32_e64 s0, 0, v7
	v_mul_f16_e32 v1, v19, v1
	v_add_nc_u32_e32 v19, 0xfffffc10, v13
	v_and_or_b32 v5, 0xffe, v11, v5
	v_sub_nc_u32_e32 v11, 0x3f1, v13
	s_wait_alu 0xf1ff
	v_cndmask_b32_e64 v7, 0, 1, s0
	v_sub_nc_u32_e32 v13, 0x3f1, v18
	v_fma_f16 v1, v20, v9, -v1
	v_or_b32_e32 v14, 0x1000, v5
	v_med3_i32 v15, v11, 0, 13
	v_cvt_f32_f16_e32 v11, v12
	v_and_or_b32 v7, 0xffe, v17, v7
	v_cvt_f32_f16_e32 v1, v1
	v_add_nc_u32_e32 v20, 0xfffffc10, v18
	v_lshrrev_b32_e32 v16, v15, v14
	v_cvt_f64_f32_e32 v[11:12], v11
	s_delay_alu instid0(VALU_DEP_2) | instskip(NEXT) | instid1(VALU_DEP_1)
	v_lshlrev_b32_e32 v15, v15, v16
	v_cmp_ne_u32_e64 s0, v15, v14
	v_or_b32_e32 v15, 0x1000, v7
	s_wait_alu 0xf1ff
	s_delay_alu instid0(VALU_DEP_2) | instskip(SKIP_1) | instid1(VALU_DEP_2)
	v_cndmask_b32_e64 v14, 0, 1, s0
	v_cmp_gt_i32_e64 s0, 1, v19
	v_or_b32_e32 v9, v16, v14
	v_lshl_or_b32 v14, v19, 12, v5
	v_med3_i32 v16, v13, 0, 13
	s_wait_alu 0xf1ff
	s_delay_alu instid0(VALU_DEP_2) | instskip(NEXT) | instid1(VALU_DEP_2)
	v_cndmask_b32_e64 v9, v14, v9, s0
	v_lshrrev_b32_e32 v17, v16, v15
	v_cvt_f64_f32_e32 v[13:14], v1
	s_delay_alu instid0(VALU_DEP_3) | instskip(NEXT) | instid1(VALU_DEP_3)
	v_and_b32_e32 v1, 7, v9
	v_lshlrev_b32_e32 v16, v16, v17
	v_lshrrev_b32_e32 v9, 2, v9
	s_delay_alu instid0(VALU_DEP_3) | instskip(SKIP_1) | instid1(VALU_DEP_4)
	v_cmp_lt_i32_e64 s0, 5, v1
	v_cmp_eq_u32_e64 s1, 3, v1
	v_cmp_ne_u32_e64 s2, v16, v15
	v_mul_f64_e32 v[11:12], s[10:11], v[11:12]
	v_mad_co_u64_u32 v[15:16], null, s6, v30, 0
	s_delay_alu instid0(VALU_DEP_4) | instskip(NEXT) | instid1(VALU_DEP_3)
	s_or_b32 s0, s1, s0
	v_cndmask_b32_e64 v1, 0, 1, s2
	s_wait_alu 0xfffe
	v_add_co_ci_u32_e64 v9, s0, 0, v9, s0
	v_cmp_ne_u32_e64 s0, 0, v5
	s_delay_alu instid0(VALU_DEP_3) | instskip(SKIP_2) | instid1(VALU_DEP_3)
	v_or_b32_e32 v1, v17, v1
	v_lshl_or_b32 v17, v20, 12, v7
	s_wait_alu 0xf1ff
	v_cndmask_b32_e64 v5, 0, 1, s0
	v_cmp_gt_i32_e64 s0, 1, v20
	s_delay_alu instid0(VALU_DEP_2) | instskip(SKIP_1) | instid1(VALU_DEP_2)
	v_lshl_or_b32 v5, v5, 9, 0x7c00
	s_wait_alu 0xf1ff
	v_cndmask_b32_e64 v18, v17, v1, s0
	v_cmp_gt_i32_e64 s0, 31, v19
	v_mov_b32_e32 v1, v16
	s_delay_alu instid0(VALU_DEP_3) | instskip(SKIP_1) | instid1(VALU_DEP_3)
	v_and_b32_e32 v21, 7, v18
	s_wait_alu 0xf1ff
	v_cndmask_b32_e64 v9, 0x7c00, v9, s0
	v_cmp_eq_u32_e64 s0, 0x40f, v19
	v_mad_co_u64_u32 v[16:17], null, s7, v30, v[1:2]
	v_lshrrev_b32_e32 v19, 16, v6
	v_cmp_eq_u32_e64 s1, 3, v21
	s_wait_alu 0xf1ff
	v_cndmask_b32_e64 v1, v9, v5, s0
	v_lshrrev_b32_e32 v5, 16, v10
	v_cmp_lt_i32_e64 s0, 5, v21
	v_mul_f64_e32 v[9:10], s[10:11], v[13:14]
	v_lshrrev_b32_e32 v13, 2, v18
	s_delay_alu instid0(VALU_DEP_4)
	v_and_or_b32 v5, 0x8000, v5, v1
	v_mul_f16_e32 v1, v24, v19
	s_or_b32 s0, s1, s0
	v_and_or_b32 v11, 0x1ff, v12, v11
	s_wait_alu 0xfffe
	v_add_co_ci_u32_e64 v13, s0, 0, v13, s0
	v_fmac_f16_e32 v1, v25, v6
	v_cmp_ne_u32_e64 s0, 0, v7
	v_lshrrev_b32_e32 v22, 8, v12
	v_bfe_u32 v23, v12, 20, 11
	v_mul_f16_e32 v6, v24, v6
	v_cvt_f32_f16_e32 v1, v1
	s_wait_alu 0xf1ff
	v_cndmask_b32_e64 v7, 0, 1, s0
	v_cmp_gt_i32_e64 s0, 31, v20
	v_and_b32_e32 v5, 0xffff, v5
	v_fma_f16 v6, v25, v19, -v6
	v_cvt_f64_f32_e32 v[17:18], v1
	v_lshl_or_b32 v7, v7, 9, 0x7c00
	s_wait_alu 0xf1ff
	v_cndmask_b32_e64 v21, 0x7c00, v13, s0
	v_cmp_ne_u32_e64 s0, 0, v11
	v_mad_co_u64_u32 v[13:14], null, s4, v84, 0
	v_lshrrev_b32_e32 v12, 16, v12
	s_wait_alu 0xf1ff
	s_delay_alu instid0(VALU_DEP_3) | instskip(SKIP_1) | instid1(VALU_DEP_4)
	v_cndmask_b32_e64 v11, 0, 1, s0
	v_cmp_eq_u32_e64 s0, 0x40f, v20
	v_mov_b32_e32 v1, v14
	s_delay_alu instid0(VALU_DEP_3)
	v_and_or_b32 v11, 0xffe, v22, v11
	v_sub_nc_u32_e32 v14, 0x3f1, v23
	s_wait_alu 0xf1ff
	v_cndmask_b32_e64 v20, v21, v7, s0
	v_lshrrev_b32_e32 v21, 16, v8
	v_mad_co_u64_u32 v[7:8], null, s5, v84, v[1:2]
	v_or_b32_e32 v1, 0x1000, v11
	v_med3_i32 v8, v14, 0, 13
	s_delay_alu instid0(VALU_DEP_4) | instskip(SKIP_2) | instid1(VALU_DEP_4)
	v_and_or_b32 v20, 0x8000, v21, v20
	v_and_or_b32 v9, 0x1ff, v10, v9
	v_add_nc_u32_e32 v22, 0xfffffc10, v23
	v_lshrrev_b32_e32 v21, v8, v1
	s_delay_alu instid0(VALU_DEP_4)
	v_lshl_or_b32 v19, v20, 16, v5
	v_cvt_f32_f16_e32 v5, v6
	v_mov_b32_e32 v14, v7
	v_cmp_ne_u32_e64 s0, 0, v9
	v_lshlrev_b32_e32 v7, v8, v21
	v_lshrrev_b32_e32 v9, 8, v10
	v_cvt_f64_f32_e32 v[5:6], v5
	v_bfe_u32 v20, v10, 20, 11
	s_wait_alu 0xf1ff
	v_cndmask_b32_e64 v8, 0, 1, s0
	v_cmp_ne_u32_e64 s0, v7, v1
	v_lshlrev_b64_e32 v[13:14], 2, v[13:14]
	v_sub_nc_u32_e32 v23, 0x3f1, v20
	s_delay_alu instid0(VALU_DEP_4)
	v_and_or_b32 v9, 0xffe, v9, v8
	s_wait_alu 0xf1ff
	v_cndmask_b32_e64 v1, 0, 1, s0
	v_lshlrev_b64_e32 v[7:8], 2, v[15:16]
	v_mul_f64_e32 v[15:16], s[10:11], v[17:18]
	v_med3_i32 v23, v23, 0, 13
	v_or_b32_e32 v24, 0x1000, v9
	v_or_b32_e32 v1, v21, v1
	v_lshl_or_b32 v21, v22, 12, v11
	v_cmp_gt_i32_e64 s0, 1, v22
	ds_load_2addr_b32 v[17:18], v4 offset0:66 offset1:134
	v_add_nc_u32_e32 v20, 0xfffffc10, v20
	s_wait_alu 0xf1ff
	v_cndmask_b32_e64 v1, v21, v1, s0
	v_lshrrev_b32_e32 v21, v23, v24
	v_add_co_u32 v4, s0, s8, v7
	s_wait_alu 0xf1ff
	v_add_co_ci_u32_e64 v8, s0, s9, v8, s0
	s_delay_alu instid0(VALU_DEP_3)
	v_lshlrev_b32_e32 v23, v23, v21
	v_and_b32_e32 v25, 7, v1
	v_add_co_u32 v7, s0, v4, v13
	s_wait_alu 0xf1ff
	v_add_co_ci_u32_e64 v8, s0, v8, v14, s0
	v_cmp_ne_u32_e64 s2, v23, v24
	v_cmp_lt_i32_e64 s0, 5, v25
	v_cmp_eq_u32_e64 s1, 3, v25
	v_lshrrev_b32_e32 v1, 2, v1
	v_lshl_or_b32 v14, v20, 12, v9
	s_wait_alu 0xf1ff
	v_cndmask_b32_e64 v4, 0, 1, s2
	s_wait_loadcnt 0x1
	v_lshrrev_b32_e32 v25, 16, v26
	s_or_b32 s0, s1, s0
	global_store_b32 v[7:8], v19, off
	s_wait_alu 0xfffe
	v_add_co_ci_u32_e64 v1, s0, 0, v1, s0
	v_or_b32_e32 v13, v21, v4
	v_mul_f64_e32 v[4:5], s[10:11], v[5:6]
	v_cmp_ne_u32_e64 s0, 0, v11
	s_wait_dscnt 0x0
	v_lshrrev_b32_e32 v6, 16, v17
	v_and_or_b32 v15, 0x1ff, v16, v15
	s_wait_alu 0xf1ff
	v_cndmask_b32_e64 v11, 0, 1, s0
	v_cmp_gt_i32_e64 s0, 1, v20
	s_delay_alu instid0(VALU_DEP_3) | instskip(SKIP_1) | instid1(VALU_DEP_4)
	v_cmp_ne_u32_e64 s1, 0, v15
	v_lshrrev_b32_e32 v15, 8, v16
	v_lshl_or_b32 v11, v11, 9, 0x7c00
	s_wait_alu 0xf1ff
	v_cndmask_b32_e64 v13, v14, v13, s0
	v_cmp_gt_i32_e64 s0, 31, v22
	v_mul_f16_e32 v14, v25, v6
	s_delay_alu instid0(VALU_DEP_3) | instskip(SKIP_1) | instid1(VALU_DEP_3)
	v_and_b32_e32 v21, 7, v13
	s_wait_alu 0xf1ff
	v_cndmask_b32_e64 v1, 0x7c00, v1, s0
	v_cmp_eq_u32_e64 s0, 0x40f, v22
	v_fmac_f16_e32 v14, v26, v17
	v_bfe_u32 v22, v16, 20, 11
	v_lshrrev_b32_e32 v16, 16, v16
	s_wait_alu 0xf1ff
	v_cndmask_b32_e64 v1, v1, v11, s0
	v_cmp_lt_i32_e64 s0, 5, v21
	v_cndmask_b32_e64 v11, 0, 1, s1
	v_cmp_eq_u32_e64 s1, 3, v21
	v_lshrrev_b32_e32 v21, 2, v13
	v_cvt_f32_f16_e32 v14, v14
	v_and_or_b32 v1, 0x8000, v12, v1
	v_and_or_b32 v15, 0xffe, v15, v11
	s_or_b32 s0, s1, s0
	v_sub_nc_u32_e32 v11, 0x3f1, v22
	s_wait_alu 0xfffe
	v_add_co_ci_u32_e64 v21, s0, 0, v21, s0
	v_cmp_ne_u32_e64 s0, 0, v9
	v_cvt_f64_f32_e32 v[13:14], v14
	v_or_b32_e32 v23, 0x1000, v15
	v_med3_i32 v11, v11, 0, 13
	v_and_or_b32 v4, 0x1ff, v5, v4
	s_wait_alu 0xf1ff
	v_cndmask_b32_e64 v9, 0, 1, s0
	v_cmp_gt_i32_e64 s0, 31, v20
	v_lshrrev_b32_e32 v12, 8, v5
	v_lshrrev_b32_e32 v24, v11, v23
	v_and_b32_e32 v1, 0xffff, v1
	v_lshl_or_b32 v9, v9, 9, 0x7c00
	s_wait_alu 0xf1ff
	v_cndmask_b32_e64 v21, 0x7c00, v21, s0
	v_cmp_eq_u32_e64 s0, 0x40f, v20
	s_wait_alu 0xf1ff
	s_delay_alu instid0(VALU_DEP_1)
	v_cndmask_b32_e64 v20, v21, v9, s0
	v_lshlrev_b32_e32 v9, v11, v24
	v_cmp_ne_u32_e64 s0, 0, v4
	v_mul_f16_e32 v11, v25, v17
	v_bfe_u32 v17, v5, 20, 11
	v_add_nc_u32_e32 v21, 0xfffffc10, v22
	s_wait_alu 0xf1ff
	v_cndmask_b32_e64 v4, 0, 1, s0
	v_cmp_ne_u32_e64 s0, v9, v23
	v_fma_f16 v6, v26, v6, -v11
	v_sub_nc_u32_e32 v11, 0x3f1, v17
	v_lshl_or_b32 v23, v21, 12, v15
	v_and_or_b32 v4, 0xffe, v12, v4
	s_wait_alu 0xf1ff
	v_cndmask_b32_e64 v9, 0, 1, s0
	v_cmp_gt_i32_e64 s0, 1, v21
	v_med3_i32 v25, v11, 0, 13
	v_cvt_f32_f16_e32 v6, v6
	v_add_nc_u32_e32 v17, 0xfffffc10, v17
	v_or_b32_e32 v22, v24, v9
	v_or_b32_e32 v24, 0x1000, v4
	s_wait_loadcnt 0x0
	v_lshrrev_b32_e32 v26, 16, v27
	v_cvt_f64_f32_e32 v[11:12], v6
	v_lshrrev_b32_e32 v6, 16, v10
	s_wait_alu 0xf1ff
	v_cndmask_b32_e64 v22, v23, v22, s0
	v_lshrrev_b32_e32 v23, v25, v24
	v_mul_f64_e32 v[9:10], s[10:11], v[13:14]
	s_mul_u64 s[0:1], s[4:5], 0x1fe
	v_and_or_b32 v6, 0x8000, v6, v20
	v_and_b32_e32 v13, 7, v22
	v_lshlrev_b32_e32 v14, v25, v23
	s_wait_alu 0xfffe
	s_lshl_b64 s[6:7], s[0:1], 2
	v_lshrrev_b32_e32 v19, 2, v22
	v_lshl_or_b32 v1, v6, 16, v1
	v_cmp_lt_i32_e64 s0, 5, v13
	v_cmp_ne_u32_e64 s1, v14, v24
	v_lshl_or_b32 v20, v17, 12, v4
	s_wait_alu 0xf1ff
	s_delay_alu instid0(VALU_DEP_2)
	v_cndmask_b32_e64 v6, 0, 1, s1
	v_cmp_eq_u32_e64 s1, 3, v13
	ds_load_2addr_b32 v[13:14], v63 offset0:136 offset1:204
	v_or_b32_e32 v6, v23, v6
	s_or_b32 s0, s1, s0
	s_wait_alu 0xfffe
	v_add_co_ci_u32_e64 v19, s0, 0, v19, s0
	v_cmp_ne_u32_e64 s0, 0, v15
	s_wait_alu 0xf1ff
	s_delay_alu instid0(VALU_DEP_1) | instskip(SKIP_1) | instid1(VALU_DEP_2)
	v_cndmask_b32_e64 v15, 0, 1, s0
	v_cmp_gt_i32_e64 s0, 1, v17
	v_lshl_or_b32 v15, v15, 9, 0x7c00
	s_wait_alu 0xf1ff
	s_delay_alu instid0(VALU_DEP_2)
	v_cndmask_b32_e64 v20, v20, v6, s0
	v_add_co_u32 v6, s0, v7, s6
	s_wait_alu 0xf1ff
	v_add_co_ci_u32_e64 v7, s0, s7, v8, s0
	v_cmp_gt_i32_e64 s0, 31, v21
	s_wait_dscnt 0x0
	v_lshrrev_b32_e32 v22, 16, v13
	v_and_or_b32 v9, 0x1ff, v10, v9
	v_mul_f64_e32 v[11:12], s[10:11], v[11:12]
	v_bfe_u32 v23, v10, 20, 11
	s_wait_alu 0xf1ff
	v_cndmask_b32_e64 v8, 0x7c00, v19, s0
	v_cmp_eq_u32_e64 s0, 0x40f, v21
	v_cmp_ne_u32_e64 s1, 0, v9
	v_and_b32_e32 v19, 7, v20
	v_lshrrev_b32_e32 v21, 8, v10
	s_wait_alu 0xf1ff
	v_cndmask_b32_e64 v15, v8, v15, s0
	v_mul_f16_e32 v8, v26, v22
	v_cndmask_b32_e64 v9, 0, 1, s1
	v_cmp_lt_i32_e64 s0, 5, v19
	v_cmp_eq_u32_e64 s1, 3, v19
	v_lshrrev_b32_e32 v19, 2, v20
	v_fmac_f16_e32 v8, v27, v13
	v_mul_f16_e32 v13, v26, v13
	scratch_load_b32 v26, off, off offset:64 th:TH_LOAD_LU ; 4-byte Folded Reload
	v_and_or_b32 v20, 0xffe, v21, v9
	v_sub_nc_u32_e32 v9, 0x3f1, v23
	v_cvt_f32_f16_e32 v8, v8
	s_or_b32 s0, s1, s0
	v_and_or_b32 v15, 0x8000, v16, v15
	s_wait_alu 0xfffe
	v_add_co_ci_u32_e64 v19, s0, 0, v19, s0
	v_med3_i32 v24, v9, 0, 13
	v_cvt_f64_f32_e32 v[8:9], v8
	v_cmp_ne_u32_e64 s0, 0, v4
	v_or_b32_e32 v21, 0x1000, v20
	v_and_b32_e32 v15, 0xffff, v15
	s_wait_alu 0xf1ff
	s_delay_alu instid0(VALU_DEP_3) | instskip(SKIP_2) | instid1(VALU_DEP_3)
	v_cndmask_b32_e64 v4, 0, 1, s0
	v_cmp_gt_i32_e64 s0, 31, v17
	v_lshrrev_b32_e32 v25, v24, v21
	v_lshl_or_b32 v4, v4, 9, 0x7c00
	s_wait_alu 0xf1ff
	s_delay_alu instid0(VALU_DEP_3)
	v_cndmask_b32_e64 v19, 0x7c00, v19, s0
	v_cmp_eq_u32_e64 s0, 0x40f, v17
	v_lshlrev_b32_e32 v24, v24, v25
	v_and_or_b32 v11, 0x1ff, v12, v11
	v_add_nc_u32_e32 v17, 0xfffffc10, v23
	v_bfe_u32 v23, v12, 20, 11
	s_wait_alu 0xf1ff
	v_cndmask_b32_e64 v16, v19, v4, s0
	v_fma_f16 v4, v27, v22, -v13
	v_cmp_ne_u32_e64 s0, v24, v21
	v_lshrrev_b32_e32 v19, 16, v5
	v_lshl_or_b32 v21, v17, 12, v20
	v_lshrrev_b32_e32 v22, 8, v12
	v_cvt_f32_f16_e32 v4, v4
	s_wait_alu 0xf1ff
	v_cndmask_b32_e64 v13, 0, 1, s0
	v_cmp_ne_u32_e64 s0, 0, v11
	v_and_or_b32 v16, 0x8000, v19, v16
	v_lshrrev_b32_e32 v12, 16, v12
	v_cvt_f64_f32_e32 v[4:5], v4
	v_or_b32_e32 v13, v25, v13
	s_wait_alu 0xf1ff
	v_cndmask_b32_e64 v11, 0, 1, s0
	v_cmp_gt_i32_e64 s0, 1, v17
	s_delay_alu instid0(VALU_DEP_2) | instskip(SKIP_1) | instid1(VALU_DEP_2)
	v_and_or_b32 v19, 0xffe, v22, v11
	s_wait_alu 0xf1ff
	v_cndmask_b32_e64 v13, v21, v13, s0
	v_sub_nc_u32_e32 v11, 0x3f1, v23
	v_mul_f64_e32 v[8:9], s[10:11], v[8:9]
	s_movk_i32 s0, 0xfe46
	s_mov_b32 s1, -1
	v_and_b32_e32 v21, 7, v13
	v_or_b32_e32 v22, 0x1000, v19
	v_med3_i32 v11, v11, 0, 13
	s_wait_alu 0xfffe
	s_mul_u64 s[2:3], s[4:5], s[0:1]
	v_lshrrev_b32_e32 v13, 2, v13
	v_cmp_lt_i32_e64 s0, 5, v21
	v_cmp_eq_u32_e64 s1, 3, v21
	v_lshrrev_b32_e32 v24, v11, v22
	v_lshl_or_b32 v21, v16, 16, v15
	s_wait_alu 0xfffe
	s_lshl_b64 s[4:5], s[2:3], 2
	s_or_b32 s0, s1, s0
	v_lshlrev_b32_e32 v11, v11, v24
	s_wait_alu 0xfffe
	v_add_co_ci_u32_e64 v13, s0, 0, v13, s0
	v_cmp_ne_u32_e64 s0, 0, v20
	v_add_nc_u32_e32 v20, 0xfffffc10, v23
	s_wait_alu 0xf1ff
	s_delay_alu instid0(VALU_DEP_2) | instskip(SKIP_1) | instid1(VALU_DEP_3)
	v_cndmask_b32_e64 v15, 0, 1, s0
	v_cmp_ne_u32_e64 s0, v11, v22
	v_lshl_or_b32 v16, v20, 12, v19
	v_lshrrev_b32_e32 v22, 16, v18
	v_mul_f64_e32 v[4:5], s[10:11], v[4:5]
	s_wait_alu 0xf1ff
	v_cndmask_b32_e64 v11, 0, 1, s0
	v_cmp_gt_i32_e64 s0, 31, v17
	v_lshl_or_b32 v15, v15, 9, 0x7c00
	s_delay_alu instid0(VALU_DEP_3) | instskip(SKIP_1) | instid1(VALU_DEP_3)
	v_or_b32_e32 v11, v24, v11
	s_wait_alu 0xf1ff
	v_cndmask_b32_e64 v13, 0x7c00, v13, s0
	v_cmp_gt_i32_e64 s0, 1, v20
	v_and_or_b32 v8, 0x1ff, v9, v8
	s_wait_alu 0xf1ff
	s_delay_alu instid0(VALU_DEP_2) | instskip(SKIP_1) | instid1(VALU_DEP_3)
	v_cndmask_b32_e64 v24, v16, v11, s0
	v_cmp_eq_u32_e64 s0, 0x40f, v17
	v_cmp_ne_u32_e64 s2, 0, v8
	s_delay_alu instid0(VALU_DEP_3) | instskip(SKIP_1) | instid1(VALU_DEP_3)
	v_and_b32_e32 v17, 7, v24
	s_wait_alu 0xf1ff
	v_cndmask_b32_e64 v13, v13, v15, s0
	v_lshrrev_b32_e32 v15, 16, v10
	v_add_co_u32 v10, s0, v6, s4
	s_wait_alu 0xf1ff
	v_add_co_ci_u32_e64 v11, s0, s5, v7, s0
	v_cmp_lt_i32_e64 s0, 5, v17
	v_cmp_eq_u32_e64 s1, 3, v17
	v_lshrrev_b32_e32 v17, 2, v24
	v_cndmask_b32_e64 v8, 0, 1, s2
	v_bfe_u32 v24, v9, 20, 11
	v_and_or_b32 v13, 0x8000, v15, v13
	s_or_b32 s0, s1, s0
	s_clause 0x1
	global_store_b32 v[6:7], v1, off
	global_store_b32 v[10:11], v21, off
	s_wait_alu 0xfffe
	v_add_co_ci_u32_e64 v17, s0, 0, v17, s0
	v_cmp_ne_u32_e64 s0, 0, v19
	v_and_b32_e32 v13, 0xffff, v13
	scratch_load_b32 v28, off, off offset:24 th:TH_LOAD_LU ; 4-byte Folded Reload
	v_and_or_b32 v4, 0x1ff, v5, v4
	s_clause 0x1
	scratch_load_b32 v30, off, off offset:12 th:TH_LOAD_LU
	scratch_load_b32 v29, off, off offset:8 th:TH_LOAD_LU
	s_wait_alu 0xf1ff
	v_cndmask_b32_e64 v19, 0, 1, s0
	v_cmp_gt_i32_e64 s0, 31, v20
	s_delay_alu instid0(VALU_DEP_2) | instskip(SKIP_2) | instid1(VALU_DEP_1)
	v_lshl_or_b32 v19, v19, 9, 0x7c00
	s_wait_loadcnt 0x3
	v_lshrrev_b32_e32 v25, 16, v26
	v_mul_f16_e32 v23, v25, v22
	s_delay_alu instid0(VALU_DEP_1)
	v_fmac_f16_e32 v23, v26, v18
	v_mul_f16_e32 v18, v25, v18
	s_wait_alu 0xf1ff
	v_cndmask_b32_e64 v25, 0x7c00, v17, s0
	v_cmp_eq_u32_e64 s0, 0x40f, v20
	v_cvt_f32_f16_e32 v16, v23
	v_lshrrev_b32_e32 v23, 8, v9
	v_fma_f16 v18, v26, v22, -v18
	s_wait_alu 0xf1ff
	v_cndmask_b32_e64 v19, v25, v19, s0
	v_cmp_ne_u32_e64 s0, 0, v4
	v_bfe_u32 v25, v5, 20, 11
	v_and_or_b32 v8, 0xffe, v23, v8
	v_sub_nc_u32_e32 v23, 0x3f1, v24
	v_and_or_b32 v12, 0x8000, v12, v19
	s_wait_alu 0xf1ff
	v_cndmask_b32_e64 v4, 0, 1, s0
	v_cvt_f64_f32_e32 v[15:16], v16
	v_or_b32_e32 v22, 0x1000, v8
	v_med3_i32 v23, v23, 0, 13
	v_lshl_or_b32 v1, v12, 16, v13
	v_cvt_f32_f16_e32 v18, v18
	s_delay_alu instid0(VALU_DEP_3) | instskip(NEXT) | instid1(VALU_DEP_2)
	v_lshrrev_b32_e32 v26, v23, v22
	v_cvt_f64_f32_e32 v[17:18], v18
	s_delay_alu instid0(VALU_DEP_2) | instskip(SKIP_2) | instid1(VALU_DEP_3)
	v_lshlrev_b32_e32 v20, v23, v26
	v_lshrrev_b32_e32 v23, 8, v5
	v_lshrrev_b32_e32 v5, 16, v5
	v_cmp_ne_u32_e64 s0, v20, v22
	v_add_nc_u32_e32 v22, 0xfffffc10, v24
	s_delay_alu instid0(VALU_DEP_4)
	v_and_or_b32 v4, 0xffe, v23, v4
	v_sub_nc_u32_e32 v23, 0x3f1, v25
	s_wait_alu 0xf1ff
	v_cndmask_b32_e64 v20, 0, 1, s0
	v_lshl_or_b32 v24, v22, 12, v8
	v_cmp_gt_i32_e64 s0, 1, v22
	v_med3_i32 v23, v23, 0, 13
	s_delay_alu instid0(VALU_DEP_4) | instskip(SKIP_2) | instid1(VALU_DEP_2)
	v_or_b32_e32 v20, v26, v20
	v_or_b32_e32 v26, 0x1000, v4
	s_wait_alu 0xf1ff
	v_cndmask_b32_e64 v19, v24, v20, s0
	s_delay_alu instid0(VALU_DEP_2) | instskip(SKIP_3) | instid1(VALU_DEP_3)
	v_lshrrev_b32_e32 v20, v23, v26
	v_add_co_u32 v6, s0, v10, s6
	s_wait_alu 0xf1ff
	v_add_co_ci_u32_e64 v7, s0, s7, v11, s0
	v_lshlrev_b32_e32 v13, v23, v20
	v_and_b32_e32 v12, 7, v19
	v_mul_f64_e32 v[15:16], s[10:11], v[15:16]
	global_store_b32 v[6:7], v1, off
	v_cmp_ne_u32_e64 s2, v13, v26
	scratch_load_b32 v26, off, off offset:28 th:TH_LOAD_LU ; 4-byte Folded Reload
	v_cmp_lt_i32_e64 s0, 5, v12
	v_cmp_eq_u32_e64 s1, 3, v12
	v_lshrrev_b32_e32 v12, 2, v19
	v_add_nc_u32_e32 v19, 0xfffffc10, v25
	scratch_load_b32 v25, off, off offset:20 th:TH_LOAD_LU ; 4-byte Folded Reload
	v_mul_f64_e32 v[10:11], s[10:11], v[17:18]
	s_or_b32 s0, s1, s0
	v_cndmask_b32_e64 v13, 0, 1, s2
	s_wait_alu 0xfffe
	v_add_co_ci_u32_e64 v12, s0, 0, v12, s0
	v_cmp_ne_u32_e64 s0, 0, v8
	v_lshrrev_b32_e32 v17, 16, v14
	v_or_b32_e32 v13, v20, v13
	v_lshl_or_b32 v18, v19, 12, v4
	s_wait_alu 0xf1ff
	v_cndmask_b32_e64 v8, 0, 1, s0
	v_cmp_gt_i32_e64 s0, 1, v19
	s_delay_alu instid0(VALU_DEP_2) | instskip(SKIP_1) | instid1(VALU_DEP_2)
	v_lshl_or_b32 v8, v8, 9, 0x7c00
	s_wait_alu 0xf1ff
	v_cndmask_b32_e64 v18, v18, v13, s0
	v_cmp_gt_i32_e64 s0, 31, v22
	s_delay_alu instid0(VALU_DEP_2) | instskip(NEXT) | instid1(VALU_DEP_1)
	v_and_b32_e32 v21, 7, v18
	v_cmp_eq_u32_e64 s1, 3, v21
	v_and_or_b32 v13, 0x1ff, v16, v15
	s_wait_alu 0xf1ff
	v_cndmask_b32_e64 v15, 0x7c00, v12, s0
	v_lshrrev_b32_e32 v23, 8, v16
	v_bfe_u32 v24, v16, 20, 11
	v_lshrrev_b32_e32 v16, 16, v16
	v_cmp_ne_u32_e64 s0, 0, v13
	v_and_or_b32 v10, 0x1ff, v11, v10
	s_wait_loadcnt 0x1
	v_mul_f16_e32 v20, v26, v17
	s_wait_loadcnt 0x0
	s_delay_alu instid0(VALU_DEP_1) | instskip(SKIP_1) | instid1(VALU_DEP_2)
	v_fmac_f16_e32 v20, v25, v14
	v_mul_f16_e32 v14, v26, v14
	v_cvt_f32_f16_e32 v12, v20
	s_wait_alu 0xf1ff
	v_cndmask_b32_e64 v20, 0, 1, s0
	v_cmp_eq_u32_e64 s0, 0x40f, v22
	s_delay_alu instid0(VALU_DEP_3) | instskip(NEXT) | instid1(VALU_DEP_3)
	v_cvt_f64_f32_e32 v[12:13], v12
	v_and_or_b32 v20, 0xffe, v23, v20
	s_wait_alu 0xf1ff
	s_delay_alu instid0(VALU_DEP_3)
	v_cndmask_b32_e64 v22, v15, v8, s0
	v_sub_nc_u32_e32 v8, 0x3f1, v24
	v_cmp_lt_i32_e64 s0, 5, v21
	v_lshrrev_b32_e32 v15, 2, v18
	v_or_b32_e32 v18, 0x1000, v20
	v_lshrrev_b32_e32 v21, 16, v9
	v_med3_i32 v8, v8, 0, 13
	s_or_b32 s0, s1, s0
	v_add_nc_u32_e32 v24, 0xfffffc10, v24
	s_wait_alu 0xfffe
	v_add_co_ci_u32_e64 v9, s0, 0, v15, s0
	v_lshrrev_b32_e32 v15, v8, v18
	v_cmp_gt_i32_e64 s0, 31, v19
	v_and_or_b32 v1, 0x8000, v21, v22
	s_delay_alu instid0(VALU_DEP_3) | instskip(SKIP_1) | instid1(VALU_DEP_3)
	v_lshlrev_b32_e32 v8, v8, v15
	s_wait_alu 0xf1ff
	v_cndmask_b32_e64 v23, 0x7c00, v9, s0
	v_cmp_ne_u32_e64 s0, 0, v10
	v_fma_f16 v9, v25, v17, -v14
	v_lshrrev_b32_e32 v14, 8, v11
	v_bfe_u32 v17, v11, 20, 11
	v_lshrrev_b32_e32 v11, 16, v11
	s_wait_alu 0xf1ff
	v_cndmask_b32_e64 v10, 0, 1, s0
	v_cmp_ne_u32_e64 s0, v8, v18
	v_cvt_f32_f16_e32 v9, v9
	v_and_b32_e32 v1, 0xffff, v1
	s_delay_alu instid0(VALU_DEP_4)
	v_and_or_b32 v10, 0xffe, v14, v10
	s_wait_alu 0xf1ff
	v_cndmask_b32_e64 v18, 0, 1, s0
	v_sub_nc_u32_e32 v14, 0x3f1, v17
	v_cmp_ne_u32_e64 s0, 0, v4
	v_cvt_f64_f32_e32 v[8:9], v9
	v_or_b32_e32 v25, 0x1000, v10
	v_or_b32_e32 v15, v15, v18
	v_lshl_or_b32 v18, v24, 12, v20
	s_wait_alu 0xf1ff
	v_cndmask_b32_e64 v4, 0, 1, s0
	v_med3_i32 v26, v14, 0, 13
	v_cmp_gt_i32_e64 s0, 1, v24
	v_mul_f64_e32 v[12:13], s[10:11], v[12:13]
	v_add_nc_u32_e32 v14, 0xa00, v63
	v_lshl_or_b32 v4, v4, 9, 0x7c00
	v_lshrrev_b32_e32 v27, v26, v25
	s_wait_alu 0xf1ff
	v_cndmask_b32_e64 v18, v18, v15, s0
	v_cmp_eq_u32_e64 s0, 0x40f, v19
	ds_load_2addr_b32 v[14:15], v14 offset0:74 offset1:142
	v_add_nc_u32_e32 v17, 0xfffffc10, v17
	v_and_b32_e32 v19, 7, v18
	s_wait_alu 0xf1ff
	v_cndmask_b32_e64 v4, v23, v4, s0
	v_lshlrev_b32_e32 v23, v26, v27
	s_delay_alu instid0(VALU_DEP_3) | instskip(NEXT) | instid1(VALU_DEP_3)
	v_cmp_lt_i32_e64 s0, 5, v19
	v_and_or_b32 v21, 0x8000, v5, v4
	s_delay_alu instid0(VALU_DEP_3) | instskip(SKIP_2) | instid1(VALU_DEP_4)
	v_cmp_ne_u32_e64 s1, v23, v25
	v_lshrrev_b32_e32 v5, 2, v18
	v_lshl_or_b32 v18, v17, 12, v10
	v_lshl_or_b32 v1, v21, 16, v1
	s_wait_alu 0xf1ff
	v_cndmask_b32_e64 v4, 0, 1, s1
	v_cmp_eq_u32_e64 s1, 3, v19
	s_delay_alu instid0(VALU_DEP_2)
	v_or_b32_e32 v4, v27, v4
	scratch_load_b32 v27, off, off offset:16 th:TH_LOAD_LU ; 4-byte Folded Reload
	s_or_b32 s0, s1, s0
	s_wait_dscnt 0x0
	v_lshrrev_b32_e32 v22, 16, v14
	s_wait_alu 0xfffe
	v_add_co_ci_u32_e64 v19, s0, 0, v5, s0
	v_cmp_gt_i32_e64 s0, 1, v17
	s_wait_alu 0xf1ff
	s_delay_alu instid0(VALU_DEP_1)
	v_cndmask_b32_e64 v18, v18, v4, s0
	v_cmp_ne_u32_e64 s0, 0, v20
	v_mul_f64_e32 v[4:5], s[10:11], v[8:9]
	v_mul_f16_e32 v8, v28, v22
	v_and_or_b32 v12, 0x1ff, v13, v12
	v_and_b32_e32 v9, 7, v18
	s_wait_alu 0xf1ff
	v_cndmask_b32_e64 v20, 0, 1, s0
	v_cmp_gt_i32_e64 s0, 31, v24
	v_lshrrev_b32_e32 v18, 2, v18
	v_cmp_ne_u32_e64 s2, 0, v12
	v_cmp_eq_u32_e64 s1, 3, v9
	v_lshrrev_b32_e32 v23, 8, v13
	s_wait_alu 0xf1ff
	v_cndmask_b32_e64 v19, 0x7c00, v19, s0
	v_cmp_lt_i32_e64 s0, 5, v9
	v_cndmask_b32_e64 v12, 0, 1, s2
	v_bfe_u32 v25, v13, 20, 11
	v_lshl_or_b32 v20, v20, 9, 0x7c00
	s_delay_alu instid0(VALU_DEP_4) | instskip(NEXT) | instid1(VALU_DEP_3)
	s_or_b32 s0, s1, s0
	v_and_or_b32 v12, 0xffe, v23, v12
	s_wait_alu 0xfffe
	v_add_co_ci_u32_e64 v18, s0, 0, v18, s0
	v_cmp_ne_u32_e64 s0, 0, v10
	v_sub_nc_u32_e32 v23, 0x3f1, v25
	v_or_b32_e32 v26, 0x1000, v12
	v_add_nc_u32_e32 v21, 0xfffffc10, v25
	s_wait_alu 0xf1ff
	v_cndmask_b32_e64 v10, 0, 1, s0
	v_cmp_gt_i32_e64 s0, 31, v17
	v_med3_i32 v23, v23, 0, 13
	s_delay_alu instid0(VALU_DEP_3) | instskip(SKIP_1) | instid1(VALU_DEP_3)
	v_lshl_or_b32 v10, v10, 9, 0x7c00
	s_wait_alu 0xf1ff
	v_cndmask_b32_e64 v18, 0x7c00, v18, s0
	v_cmp_eq_u32_e64 s0, 0x40f, v24
	s_wait_alu 0xf1ff
	s_delay_alu instid0(VALU_DEP_1) | instskip(SKIP_3) | instid1(VALU_DEP_4)
	v_cndmask_b32_e64 v19, v19, v20, s0
	v_lshrrev_b32_e32 v20, v23, v26
	v_cmp_eq_u32_e64 s0, 0x40f, v17
	v_and_or_b32 v4, 0x1ff, v5, v4
	v_and_or_b32 v16, 0x8000, v16, v19
	s_delay_alu instid0(VALU_DEP_4)
	v_lshlrev_b32_e32 v17, v23, v20
	s_wait_alu 0xf1ff
	v_cndmask_b32_e64 v10, v18, v10, s0
	v_bfe_u32 v19, v5, 20, 11
	v_and_b32_e32 v16, 0xffff, v16
	v_cmp_ne_u32_e64 s0, v17, v26
	s_delay_alu instid0(VALU_DEP_4) | instskip(SKIP_2) | instid1(VALU_DEP_3)
	v_and_or_b32 v18, 0x8000, v11, v10
	v_mul_f16_e32 v10, v28, v14
	s_wait_alu 0xf1ff
	v_cndmask_b32_e64 v11, 0, 1, s0
	v_cmp_ne_u32_e64 s0, 0, v4
	v_lshl_or_b32 v25, v18, 16, v16
	s_delay_alu instid0(VALU_DEP_3) | instskip(SKIP_1) | instid1(VALU_DEP_3)
	v_or_b32_e32 v17, v20, v11
	s_wait_alu 0xf1ff
	v_cndmask_b32_e64 v4, 0, 1, s0
	v_lshl_or_b32 v20, v21, 12, v12
	v_cmp_gt_i32_e64 s0, 1, v21
	s_wait_alu 0xf1ff
	s_delay_alu instid0(VALU_DEP_1) | instskip(SKIP_3) | instid1(VALU_DEP_3)
	v_cndmask_b32_e64 v20, v20, v17, s0
	v_add_co_u32 v6, s0, v6, s4
	s_wait_alu 0xf1ff
	v_add_co_ci_u32_e64 v7, s0, s5, v7, s0
	v_and_b32_e32 v18, 7, v20
	s_delay_alu instid0(VALU_DEP_3) | instskip(SKIP_1) | instid1(VALU_DEP_3)
	v_add_co_u32 v16, s0, v6, s6
	s_wait_alu 0xf1ff
	v_add_co_ci_u32_e64 v17, s0, s7, v7, s0
	s_delay_alu instid0(VALU_DEP_3) | instskip(SKIP_2) | instid1(VALU_DEP_2)
	v_cmp_lt_i32_e64 s0, 5, v18
	v_cmp_eq_u32_e64 s1, 3, v18
	v_lshrrev_b32_e32 v18, 2, v20
	s_or_b32 s0, s1, s0
	s_wait_alu 0xfffe
	s_delay_alu instid0(VALU_DEP_1) | instskip(SKIP_2) | instid1(VALU_DEP_1)
	v_add_co_ci_u32_e64 v18, s0, 0, v18, s0
	v_cmp_ne_u32_e64 s0, 0, v12
	s_wait_alu 0xf1ff
	v_cndmask_b32_e64 v12, 0, 1, s0
	s_delay_alu instid0(VALU_DEP_1)
	v_lshl_or_b32 v12, v12, 9, 0x7c00
	s_wait_loadcnt 0x0
	v_fmac_f16_e32 v8, v27, v14
	v_fma_f16 v10, v27, v22, -v10
	v_lshrrev_b32_e32 v14, 8, v5
	v_lshrrev_b32_e32 v5, 16, v5
	s_delay_alu instid0(VALU_DEP_4) | instskip(NEXT) | instid1(VALU_DEP_4)
	v_cvt_f32_f16_e32 v8, v8
	v_cvt_f32_f16_e32 v10, v10
	s_delay_alu instid0(VALU_DEP_4) | instskip(SKIP_1) | instid1(VALU_DEP_4)
	v_and_or_b32 v14, 0xffe, v14, v4
	v_sub_nc_u32_e32 v4, 0x3f1, v19
	v_cvt_f64_f32_e32 v[8:9], v8
	s_delay_alu instid0(VALU_DEP_4) | instskip(NEXT) | instid1(VALU_DEP_4)
	v_cvt_f64_f32_e32 v[10:11], v10
	v_or_b32_e32 v22, 0x1000, v14
	s_delay_alu instid0(VALU_DEP_4) | instskip(SKIP_4) | instid1(VALU_DEP_1)
	v_med3_i32 v23, v4, 0, 13
	ds_load_2addr_b32 v[3:4], v3 offset0:16 offset1:84
	global_store_b32 v[6:7], v1, off
	global_store_b32 v[16:17], v25, off
	v_lshrrev_b32_e32 v24, v23, v22
	v_lshlrev_b32_e32 v23, v23, v24
	s_delay_alu instid0(VALU_DEP_1) | instskip(SKIP_2) | instid1(VALU_DEP_2)
	v_cmp_ne_u32_e64 s2, v23, v22
	v_add_nc_u32_e32 v22, 0xfffffc10, v19
	s_wait_alu 0xf1ff
	v_cndmask_b32_e64 v20, 0, 1, s2
	s_wait_dscnt 0x0
	v_lshrrev_b32_e32 v23, 16, v3
	v_cmp_gt_i32_e64 s0, 1, v22
	s_delay_alu instid0(VALU_DEP_3) | instskip(SKIP_1) | instid1(VALU_DEP_4)
	v_or_b32_e32 v19, v24, v20
	v_lshl_or_b32 v20, v22, 12, v14
	v_mul_f16_e32 v24, v30, v23
	s_wait_alu 0xf1ff
	s_delay_alu instid0(VALU_DEP_2) | instskip(SKIP_1) | instid1(VALU_DEP_3)
	v_cndmask_b32_e64 v20, v20, v19, s0
	v_cmp_gt_i32_e64 s0, 31, v21
	v_fmac_f16_e32 v24, v29, v3
	v_mul_f16_e32 v3, v30, v3
	v_mul_f64_e32 v[8:9], s[10:11], v[8:9]
	v_mul_f64_e32 v[10:11], s[10:11], v[10:11]
	s_wait_alu 0xf1ff
	v_cndmask_b32_e64 v26, 0x7c00, v18, s0
	v_cvt_f32_f16_e32 v18, v24
	v_and_b32_e32 v24, 7, v20
	v_fma_f16 v3, v29, v23, -v3
	s_delay_alu instid0(VALU_DEP_3) | instskip(NEXT) | instid1(VALU_DEP_3)
	v_cvt_f64_f32_e32 v[18:19], v18
	v_cmp_eq_u32_e64 s1, 3, v24
	s_delay_alu instid0(VALU_DEP_3) | instskip(SKIP_4) | instid1(VALU_DEP_4)
	v_cvt_f32_f16_e32 v3, v3
	v_and_or_b32 v8, 0x1ff, v9, v8
	v_lshrrev_b32_e32 v27, 8, v9
	v_bfe_u32 v28, v9, 20, 11
	v_and_or_b32 v10, 0x1ff, v11, v10
	v_cmp_ne_u32_e64 s0, 0, v8
	v_mul_f64_e32 v[18:19], s[10:11], v[18:19]
	s_wait_alu 0xf1ff
	s_delay_alu instid0(VALU_DEP_2) | instskip(SKIP_1) | instid1(VALU_DEP_2)
	v_cndmask_b32_e64 v8, 0, 1, s0
	v_cmp_eq_u32_e64 s0, 0x40f, v21
	v_and_or_b32 v27, 0xffe, v27, v8
	s_wait_alu 0xf1ff
	s_delay_alu instid0(VALU_DEP_2)
	v_cndmask_b32_e64 v21, v26, v12, s0
	v_cmp_lt_i32_e64 s0, 5, v24
	v_lshrrev_b32_e32 v12, 2, v20
	v_sub_nc_u32_e32 v8, 0x3f1, v28
	v_or_b32_e32 v20, 0x1000, v27
	v_lshrrev_b32_e32 v26, 16, v13
	s_or_b32 s0, s1, s0
	s_wait_alu 0xfffe
	v_add_co_ci_u32_e64 v12, s0, 0, v12, s0
	v_cmp_ne_u32_e64 s0, 0, v14
	v_med3_i32 v8, v8, 0, 13
	s_wait_alu 0xf1ff
	s_delay_alu instid0(VALU_DEP_2) | instskip(SKIP_1) | instid1(VALU_DEP_3)
	v_cndmask_b32_e64 v13, 0, 1, s0
	v_cmp_gt_i32_e64 s0, 31, v22
	v_lshrrev_b32_e32 v14, v8, v20
	s_delay_alu instid0(VALU_DEP_3) | instskip(SKIP_1) | instid1(VALU_DEP_3)
	v_lshl_or_b32 v24, v13, 9, 0x7c00
	s_wait_alu 0xf1ff
	v_cndmask_b32_e64 v23, 0x7c00, v12, s0
	v_cvt_f64_f32_e32 v[12:13], v3
	v_lshlrev_b32_e32 v8, v8, v14
	v_cmp_eq_u32_e64 s0, 0x40f, v22
	v_and_or_b32 v3, 0x8000, v26, v21
	v_lshrrev_b32_e32 v22, 8, v11
	scratch_load_b32 v26, off, off offset:4 th:TH_LOAD_LU ; 4-byte Folded Reload
	s_wait_alu 0xf1ff
	v_cndmask_b32_e64 v21, v23, v24, s0
	v_cmp_ne_u32_e64 s0, v8, v20
	v_add_nc_u32_e32 v20, 0xfffffc10, v28
	v_bfe_u32 v23, v11, 20, 11
	v_and_b32_e32 v3, 0xffff, v3
	v_and_or_b32 v5, 0x8000, v5, v21
	s_wait_alu 0xf1ff
	v_cndmask_b32_e64 v8, 0, 1, s0
	v_cmp_ne_u32_e64 s0, 0, v10
	scratch_load_b32 v28, off, off offset:56 th:TH_LOAD_LU ; 4-byte Folded Reload
	v_and_or_b32 v18, 0x1ff, v19, v18
	v_lshl_or_b32 v1, v5, 16, v3
	v_or_b32_e32 v8, v14, v8
	s_wait_alu 0xf1ff
	v_cndmask_b32_e64 v10, 0, 1, s0
	v_lshl_or_b32 v14, v20, 12, v27
	v_cmp_gt_i32_e64 s0, 1, v20
	v_lshrrev_b32_e32 v11, 16, v11
	s_delay_alu instid0(VALU_DEP_4)
	v_and_or_b32 v21, 0xffe, v22, v10
	v_sub_nc_u32_e32 v10, 0x3f1, v23
	s_wait_alu 0xf1ff
	v_cndmask_b32_e64 v14, v14, v8, s0
	v_add_co_u32 v5, s0, v16, s4
	v_or_b32_e32 v22, 0x1000, v21
	v_med3_i32 v8, v10, 0, 13
	s_delay_alu instid0(VALU_DEP_4)
	v_and_b32_e32 v3, 7, v14
	s_wait_alu 0xf1ff
	v_add_co_ci_u32_e64 v6, s0, s5, v17, s0
	v_lshrrev_b32_e32 v16, 16, v15
	v_lshrrev_b32_e32 v10, v8, v22
	v_cmp_lt_i32_e64 s0, 5, v3
	v_cmp_eq_u32_e64 s1, 3, v3
	global_store_b32 v[5:6], v1, off
	v_lshlrev_b32_e32 v17, v8, v10
	v_mul_f64_e32 v[7:8], s[10:11], v[12:13]
	v_lshrrev_b32_e32 v12, 2, v14
	s_or_b32 s0, s1, s0
	v_add_nc_u32_e32 v14, 0xfffffc10, v23
	v_cmp_ne_u32_e64 s2, v17, v22
	s_wait_alu 0xfffe
	v_add_co_ci_u32_e64 v17, s0, 0, v12, s0
	v_cmp_ne_u32_e64 s0, 0, v27
	s_clause 0x1
	scratch_load_b32 v27, off, off offset:40 th:TH_LOAD_LU
	scratch_load_b32 v25, off, off th:TH_LOAD_LU
	s_wait_alu 0xf1ff
	v_cndmask_b32_e64 v13, 0, 1, s2
	v_lshl_or_b32 v22, v14, 12, v21
	v_cndmask_b32_e64 v23, 0, 1, s0
	v_cmp_gt_i32_e64 s0, 1, v14
	s_delay_alu instid0(VALU_DEP_4) | instskip(NEXT) | instid1(VALU_DEP_3)
	v_or_b32_e32 v10, v10, v13
	v_lshl_or_b32 v23, v23, 9, 0x7c00
	v_and_or_b32 v7, 0x1ff, v8, v7
	s_wait_loadcnt 0x3
	v_mul_f16_e32 v3, v26, v16
	s_wait_loadcnt 0x0
	s_delay_alu instid0(VALU_DEP_1) | instskip(NEXT) | instid1(VALU_DEP_1)
	v_fmac_f16_e32 v3, v25, v15
	v_cvt_f32_f16_e32 v3, v3
	s_delay_alu instid0(VALU_DEP_1)
	v_cvt_f64_f32_e32 v[12:13], v3
	s_wait_alu 0xf1ff
	v_cndmask_b32_e64 v3, v22, v10, s0
	v_cmp_ne_u32_e64 s0, 0, v18
	v_lshrrev_b32_e32 v18, 8, v19
	v_bfe_u32 v22, v19, 20, 11
	v_lshrrev_b32_e32 v19, 16, v19
	v_and_b32_e32 v24, 7, v3
	s_wait_alu 0xf1ff
	v_cndmask_b32_e64 v10, 0, 1, s0
	v_cmp_gt_i32_e64 s0, 31, v20
	v_lshrrev_b32_e32 v3, 2, v3
	v_cmp_eq_u32_e64 s1, 3, v24
	s_delay_alu instid0(VALU_DEP_4)
	v_and_or_b32 v18, 0xffe, v18, v10
	v_sub_nc_u32_e32 v10, 0x3f1, v22
	s_wait_alu 0xf1ff
	v_cndmask_b32_e64 v17, 0x7c00, v17, s0
	v_cmp_eq_u32_e64 s0, 0x40f, v20
	v_add_nc_u32_e32 v22, 0xfffffc10, v22
	v_or_b32_e32 v20, 0x1000, v18
	v_med3_i32 v10, v10, 0, 13
	s_wait_alu 0xf1ff
	v_cndmask_b32_e64 v17, v17, v23, s0
	v_cmp_lt_i32_e64 s0, 5, v24
	v_lshrrev_b32_e32 v23, 16, v9
	v_lshrrev_b32_e32 v24, v10, v20
	v_mul_f16_e32 v9, v26, v15
	v_lshrrev_b32_e32 v15, 8, v8
	s_or_b32 s0, s1, s0
	v_and_or_b32 v1, 0x8000, v23, v17
	s_wait_alu 0xfffe
	v_add_co_ci_u32_e64 v3, s0, 0, v3, s0
	v_lshlrev_b32_e32 v10, v10, v24
	v_cmp_ne_u32_e64 s0, 0, v7
	v_fma_f16 v9, v25, v16, -v9
	v_bfe_u32 v16, v8, 20, 11
	s_wait_alu 0xf1ff
	s_delay_alu instid0(VALU_DEP_3) | instskip(SKIP_3) | instid1(VALU_DEP_4)
	v_cndmask_b32_e64 v7, 0, 1, s0
	v_cmp_ne_u32_e64 s0, v10, v20
	v_cvt_f32_f16_e32 v25, v9
	v_mul_f64_e32 v[9:10], s[10:11], v[12:13]
	v_and_or_b32 v7, 0xffe, v15, v7
	s_wait_alu 0xf1ff
	v_cndmask_b32_e64 v20, 0, 1, s0
	v_cmp_ne_u32_e64 s0, 0, v21
	v_sub_nc_u32_e32 v15, 0x3f1, v16
	v_cvt_f64_f32_e32 v[12:13], v25
	v_or_b32_e32 v25, 0x1000, v7
	v_or_b32_e32 v20, v24, v20
	s_wait_alu 0xf1ff
	v_cndmask_b32_e64 v21, 0, 1, s0
	v_cmp_gt_i32_e64 s0, 31, v14
	v_lshl_or_b32 v24, v22, 12, v18
	v_med3_i32 v15, v15, 0, 13
	s_delay_alu instid0(VALU_DEP_4) | instskip(SKIP_4) | instid1(VALU_DEP_1)
	v_lshl_or_b32 v21, v21, 9, 0x7c00
	s_wait_alu 0xf1ff
	v_cndmask_b32_e64 v3, 0x7c00, v3, s0
	v_cmp_gt_i32_e64 s0, 1, v22
	s_wait_alu 0xf1ff
	v_cndmask_b32_e64 v20, v24, v20, s0
	v_lshrrev_b32_e32 v24, v15, v25
	v_cmp_eq_u32_e64 s0, 0x40f, v14
	s_delay_alu instid0(VALU_DEP_3) | instskip(NEXT) | instid1(VALU_DEP_3)
	v_and_b32_e32 v14, 7, v20
	v_lshlrev_b32_e32 v15, v15, v24
	s_wait_alu 0xf1ff
	s_delay_alu instid0(VALU_DEP_3) | instskip(NEXT) | instid1(VALU_DEP_3)
	v_cndmask_b32_e64 v3, v3, v21, s0
	v_cmp_lt_i32_e64 s0, 5, v14
	s_delay_alu instid0(VALU_DEP_3) | instskip(NEXT) | instid1(VALU_DEP_3)
	v_cmp_ne_u32_e64 s1, v15, v25
	v_and_or_b32 v17, 0x8000, v11, v3
	scratch_load_b32 v25, off, off offset:60 th:TH_LOAD_LU ; 4-byte Folded Reload
	v_add_nc_u32_e32 v15, 0xfffffc10, v16
	v_and_b32_e32 v16, 0xffff, v1
	s_wait_alu 0xf1ff
	v_cndmask_b32_e64 v3, 0, 1, s1
	v_cmp_eq_u32_e64 s1, 3, v14
	v_lshrrev_b32_e32 v1, 2, v20
	v_lshl_or_b32 v11, v15, 12, v7
	v_and_or_b32 v9, 0x1ff, v10, v9
	v_or_b32_e32 v3, v24, v3
	scratch_load_b32 v24, off, off offset:44 th:TH_LOAD_LU ; 4-byte Folded Reload
	s_or_b32 s0, s1, s0
	v_lshrrev_b32_e32 v21, 8, v10
	s_wait_alu 0xfffe
	v_add_co_ci_u32_e64 v1, s0, 0, v1, s0
	v_cmp_ne_u32_e64 s0, 0, v18
	v_lshrrev_b32_e32 v18, 16, v4
	v_bfe_u32 v23, v10, 20, 11
	v_lshl_or_b32 v17, v17, 16, v16
	v_lshrrev_b32_e32 v10, 16, v10
	s_wait_alu 0xf1ff
	v_cndmask_b32_e64 v14, 0, 1, s0
	v_cmp_gt_i32_e64 s0, 1, v15
	s_delay_alu instid0(VALU_DEP_2) | instskip(SKIP_1) | instid1(VALU_DEP_2)
	v_lshl_or_b32 v14, v14, 9, 0x7c00
	s_wait_alu 0xf1ff
	v_cndmask_b32_e64 v3, v11, v3, s0
	v_mul_f64_e32 v[11:12], s[10:11], v[12:13]
	v_cmp_gt_i32_e64 s0, 31, v22
	s_delay_alu instid0(VALU_DEP_3) | instskip(SKIP_2) | instid1(VALU_DEP_3)
	v_and_b32_e32 v20, 7, v3
	v_lshrrev_b32_e32 v3, 2, v3
	s_wait_alu 0xf1ff
	v_cndmask_b32_e64 v1, 0x7c00, v1, s0
	v_cmp_ne_u32_e64 s0, 0, v9
	v_cmp_eq_u32_e64 s1, 3, v20
	s_wait_alu 0xf1ff
	s_delay_alu instid0(VALU_DEP_2) | instskip(SKIP_1) | instid1(VALU_DEP_2)
	v_cndmask_b32_e64 v9, 0, 1, s0
	v_cmp_eq_u32_e64 s0, 0x40f, v22
	v_and_or_b32 v9, 0xffe, v21, v9
	s_wait_alu 0xf1ff
	s_delay_alu instid0(VALU_DEP_2) | instskip(SKIP_3) | instid1(VALU_DEP_4)
	v_cndmask_b32_e64 v1, v1, v14, s0
	v_cmp_lt_i32_e64 s0, 5, v20
	v_sub_nc_u32_e32 v21, 0x3f1, v23
	v_or_b32_e32 v20, 0x1000, v9
	v_and_or_b32 v19, 0x8000, v19, v1
	s_delay_alu instid0(VALU_DEP_4) | instskip(NEXT) | instid1(VALU_DEP_3)
	s_or_b32 s0, s1, s0
	v_med3_i32 v21, v21, 0, 13
	s_wait_alu 0xfffe
	v_add_co_ci_u32_e64 v3, s0, 0, v3, s0
	v_cmp_ne_u32_e64 s0, 0, v7
	v_and_b32_e32 v16, 0xffff, v19
	v_lshrrev_b32_e32 v22, v21, v20
	s_wait_alu 0xf1ff
	s_delay_alu instid0(VALU_DEP_3) | instskip(SKIP_1) | instid1(VALU_DEP_2)
	v_cndmask_b32_e64 v7, 0, 1, s0
	v_cmp_gt_i32_e64 s0, 31, v15
	v_lshl_or_b32 v7, v7, 9, 0x7c00
	s_wait_alu 0xf1ff
	s_delay_alu instid0(VALU_DEP_2) | instskip(SKIP_2) | instid1(VALU_DEP_1)
	v_cndmask_b32_e64 v3, 0x7c00, v3, s0
	v_cmp_eq_u32_e64 s0, 0x40f, v15
	s_wait_alu 0xf1ff
	v_cndmask_b32_e64 v15, v3, v7, s0
	v_and_or_b32 v3, 0x1ff, v12, v11
	v_add_nc_u32_e32 v11, 0xfffffc10, v23
	s_wait_loadcnt 0x0
	v_mul_f16_e32 v13, v24, v18
	v_mul_f16_e32 v1, v24, v4
	s_delay_alu instid0(VALU_DEP_2) | instskip(SKIP_1) | instid1(VALU_DEP_3)
	v_fmac_f16_e32 v13, v25, v4
	v_lshlrev_b32_e32 v4, v21, v22
	v_fma_f16 v1, v25, v18, -v1
	v_lshrrev_b32_e32 v21, 16, v8
	v_lshrrev_b32_e32 v18, 8, v12
	v_cvt_f32_f16_e32 v13, v13
	v_cmp_ne_u32_e64 s0, v4, v20
	v_cvt_f32_f16_e32 v1, v1
	v_bfe_u32 v20, v12, 20, 11
	v_and_or_b32 v15, 0x8000, v21, v15
	v_cvt_f64_f32_e32 v[13:14], v13
	s_wait_alu 0xf1ff
	v_cndmask_b32_e64 v7, 0, 1, s0
	v_cmp_ne_u32_e64 s0, 0, v3
	v_cvt_f64_f32_e32 v[3:4], v1
	v_sub_nc_u32_e32 v23, 0x3f1, v20
	ds_load_2addr_b32 v[1:2], v2 offset0:82 offset1:150
	v_or_b32_e32 v7, v22, v7
	s_wait_alu 0xf1ff
	v_cndmask_b32_e64 v8, 0, 1, s0
	v_lshl_or_b32 v22, v11, 12, v9
	v_cmp_gt_i32_e64 s0, 1, v11
	v_add_nc_u32_e32 v20, 0xfffffc10, v20
	s_delay_alu instid0(VALU_DEP_4) | instskip(SKIP_1) | instid1(VALU_DEP_3)
	v_and_or_b32 v18, 0xffe, v18, v8
	s_wait_alu 0xf1ff
	v_cndmask_b32_e64 v22, v22, v7, s0
	v_add_co_u32 v5, s0, v5, s6
	s_wait_alu 0xf1ff
	v_add_co_ci_u32_e64 v6, s0, s7, v6, s0
	s_delay_alu instid0(VALU_DEP_3) | instskip(NEXT) | instid1(VALU_DEP_1)
	v_and_b32_e32 v19, 7, v22
	v_cmp_lt_i32_e64 s0, 5, v19
	v_cmp_eq_u32_e64 s1, 3, v19
	s_wait_dscnt 0x0
	v_lshrrev_b32_e32 v19, 16, v1
	s_delay_alu instid0(VALU_DEP_2)
	s_or_b32 s0, s1, s0
	v_mul_f64_e32 v[7:8], s[10:11], v[13:14]
	v_or_b32_e32 v13, 0x1000, v18
	v_med3_i32 v14, v23, 0, 13
	v_lshl_or_b32 v23, v15, 16, v16
	v_lshrrev_b32_e32 v15, 2, v22
	v_mul_f64_e32 v[3:4], s[10:11], v[3:4]
	v_lshl_or_b32 v16, v20, 12, v18
	v_lshrrev_b32_e32 v21, v14, v13
	s_wait_alu 0xfffe
	v_add_co_ci_u32_e64 v15, s0, 0, v15, s0
	v_cmp_ne_u32_e64 s0, 0, v9
	s_delay_alu instid0(VALU_DEP_3) | instskip(SKIP_1) | instid1(VALU_DEP_2)
	v_lshlrev_b32_e32 v14, v14, v21
	s_wait_alu 0xf1ff
	v_cndmask_b32_e64 v9, 0, 1, s0
	s_delay_alu instid0(VALU_DEP_2) | instskip(SKIP_2) | instid1(VALU_DEP_4)
	v_cmp_ne_u32_e64 s2, v14, v13
	v_mul_f16_e32 v14, v27, v19
	v_cmp_gt_i32_e64 s0, 1, v20
	v_lshl_or_b32 v9, v9, 9, 0x7c00
	s_wait_alu 0xf1ff
	v_cndmask_b32_e64 v13, 0, 1, s2
	v_fmac_f16_e32 v14, v28, v1
	v_mul_f16_e32 v1, v27, v1
	s_delay_alu instid0(VALU_DEP_3) | instskip(NEXT) | instid1(VALU_DEP_2)
	v_or_b32_e32 v13, v21, v13
	v_fma_f16 v1, v28, v19, -v1
	s_delay_alu instid0(VALU_DEP_2) | instskip(SKIP_2) | instid1(VALU_DEP_4)
	v_cndmask_b32_e64 v21, v16, v13, s0
	v_cmp_gt_i32_e64 s0, 31, v11
	v_cvt_f32_f16_e32 v13, v14
	v_cvt_f32_f16_e32 v1, v1
	s_delay_alu instid0(VALU_DEP_4)
	v_and_b32_e32 v24, 7, v21
	v_and_or_b32 v7, 0x1ff, v8, v7
	s_wait_alu 0xf1ff
	v_cndmask_b32_e64 v22, 0x7c00, v15, s0
	v_add_co_u32 v15, s0, v5, s4
	s_wait_alu 0xf1ff
	v_add_co_ci_u32_e64 v16, s0, s5, v6, s0
	v_cvt_f64_f32_e32 v[13:14], v13
	v_cmp_eq_u32_e64 s0, 0x40f, v11
	v_cmp_ne_u32_e64 s1, 0, v7
	v_lshrrev_b32_e32 v21, 2, v21
	v_lshrrev_b32_e32 v11, 8, v8
	v_and_or_b32 v3, 0x1ff, v4, v3
	s_wait_alu 0xf1ff
	v_cndmask_b32_e64 v9, v22, v9, s0
	v_cmp_lt_i32_e64 s0, 5, v24
	v_cndmask_b32_e64 v7, 0, 1, s1
	v_cmp_eq_u32_e64 s1, 3, v24
	v_bfe_u32 v22, v8, 20, 11
	v_and_or_b32 v25, 0x8000, v10, v9
	global_store_b32 v[5:6], v17, off
	global_store_b32 v[15:16], v23, off
	v_and_or_b32 v7, 0xffe, v11, v7
	s_or_b32 s0, s1, s0
	v_sub_nc_u32_e32 v11, 0x3f1, v22
	s_wait_alu 0xfffe
	v_add_co_ci_u32_e64 v21, s0, 0, v21, s0
	v_cmp_ne_u32_e64 s0, 0, v18
	v_or_b32_e32 v24, 0x1000, v7
	v_med3_i32 v11, v11, 0, 13
	v_add_nc_u32_e32 v19, 0xfffffc10, v22
	v_lshrrev_b32_e32 v8, 16, v8
	s_wait_alu 0xf1ff
	v_cndmask_b32_e64 v18, 0, 1, s0
	v_cmp_gt_i32_e64 s0, 31, v20
	v_lshrrev_b32_e32 v26, v11, v24
	v_lshl_or_b32 v22, v19, 12, v7
	v_cmp_eq_u32_e64 s2, 0x40f, v19
	v_lshl_or_b32 v18, v18, 9, 0x7c00
	s_wait_alu 0xf1ff
	v_cndmask_b32_e64 v21, 0x7c00, v21, s0
	v_cmp_eq_u32_e64 s0, 0x40f, v20
	v_lshlrev_b32_e32 v11, v11, v26
	v_lshrrev_b32_e32 v20, 16, v12
	v_lshrrev_b32_e32 v12, 8, v4
	s_wait_alu 0xf1ff
	v_cndmask_b32_e64 v18, v21, v18, s0
	v_cmp_ne_u32_e64 s0, 0, v3
	v_bfe_u32 v21, v4, 20, 11
	v_mul_f64_e32 v[9:10], s[10:11], v[13:14]
	v_lshrrev_b32_e32 v4, 16, v4
	s_wait_alu 0xf1ff
	v_cndmask_b32_e64 v3, 0, 1, s0
	v_cmp_ne_u32_e64 s0, v11, v24
	v_sub_nc_u32_e32 v13, 0x3f1, v21
	s_delay_alu instid0(VALU_DEP_3) | instskip(SKIP_1) | instid1(VALU_DEP_3)
	v_and_or_b32 v3, 0xffe, v12, v3
	s_wait_alu 0xf1ff
	v_cndmask_b32_e64 v11, 0, 1, s0
	v_cmp_gt_i32_e64 s0, 1, v19
	s_delay_alu instid0(VALU_DEP_3) | instskip(NEXT) | instid1(VALU_DEP_3)
	v_or_b32_e32 v24, 0x1000, v3
	v_or_b32_e32 v14, v26, v11
	v_cvt_f64_f32_e32 v[11:12], v1
	v_med3_i32 v1, v13, 0, 13
	v_and_or_b32 v13, 0x8000, v20, v18
	v_and_b32_e32 v18, 0xffff, v25
	scratch_load_b32 v25, off, off offset:52 th:TH_LOAD_LU ; 4-byte Folded Reload
	s_wait_alu 0xf1ff
	v_cndmask_b32_e64 v14, v22, v14, s0
	v_lshrrev_b32_e32 v20, v1, v24
	v_add_co_u32 v5, s0, v15, s6
	v_lshl_or_b32 v17, v13, 16, v18
	s_delay_alu instid0(VALU_DEP_4) | instskip(NEXT) | instid1(VALU_DEP_4)
	v_and_b32_e32 v13, 7, v14
	v_lshlrev_b32_e32 v1, v1, v20
	s_wait_alu 0xf1ff
	v_add_co_ci_u32_e64 v6, s0, s7, v16, s0
	v_add_nc_u32_e32 v16, 0xfffffc10, v21
	v_cmp_lt_i32_e64 s0, 5, v13
	v_cmp_ne_u32_e64 s1, v1, v24
	scratch_load_b32 v24, off, off offset:36 th:TH_LOAD_LU ; 4-byte Folded Reload
	v_lshrrev_b32_e32 v15, 16, v0
	s_wait_alu 0xf1ff
	v_cndmask_b32_e64 v1, 0, 1, s1
	v_cmp_eq_u32_e64 s1, 3, v13
	v_lshrrev_b32_e32 v13, 2, v14
	v_lshl_or_b32 v14, v16, 12, v3
	v_and_or_b32 v9, 0x1ff, v10, v9
	v_or_b32_e32 v1, v20, v1
	s_or_b32 s0, s1, s0
	v_bfe_u32 v21, v10, 20, 11
	s_wait_alu 0xfffe
	v_add_co_ci_u32_e64 v20, s0, 0, v13, s0
	v_cmp_gt_i32_e64 s0, 1, v16
	s_wait_alu 0xf1ff
	s_delay_alu instid0(VALU_DEP_1) | instskip(SKIP_2) | instid1(VALU_DEP_3)
	v_cndmask_b32_e64 v1, v14, v1, s0
	v_cmp_ne_u32_e64 s0, 0, v9
	v_mul_f64_e32 v[11:12], s[10:11], v[11:12]
	v_and_b32_e32 v22, 7, v1
	s_wait_alu 0xf1ff
	s_delay_alu instid0(VALU_DEP_3) | instskip(SKIP_4) | instid1(VALU_DEP_3)
	v_cndmask_b32_e64 v9, 0, 1, s0
	v_cmp_ne_u32_e64 s0, 0, v7
	v_lshrrev_b32_e32 v1, 2, v1
	v_cmp_eq_u32_e64 s1, 3, v22
	s_wait_alu 0xf1ff
	v_cndmask_b32_e64 v7, 0, 1, s0
	v_cmp_gt_i32_e64 s0, 31, v19
	s_delay_alu instid0(VALU_DEP_2) | instskip(SKIP_1) | instid1(VALU_DEP_2)
	v_lshl_or_b32 v7, v7, 9, 0x7c00
	s_wait_alu 0xf1ff
	v_cndmask_b32_e64 v20, 0x7c00, v20, s0
	v_cmp_lt_i32_e64 s0, 5, v22
	s_delay_alu instid0(VALU_DEP_2) | instskip(NEXT) | instid1(VALU_DEP_2)
	v_cndmask_b32_e64 v7, v20, v7, s2
	s_or_b32 s0, s1, s0
	v_add_nc_u32_e32 v20, 0xfffffc10, v21
	s_wait_alu 0xfffe
	v_add_co_ci_u32_e64 v1, s0, 0, v1, s0
	v_cmp_ne_u32_e64 s0, 0, v3
	v_and_or_b32 v7, 0x8000, v8, v7
	s_wait_alu 0xf1ff
	s_delay_alu instid0(VALU_DEP_2) | instskip(SKIP_1) | instid1(VALU_DEP_3)
	v_cndmask_b32_e64 v3, 0, 1, s0
	v_cmp_gt_i32_e64 s0, 31, v16
	v_and_b32_e32 v7, 0xffff, v7
	s_delay_alu instid0(VALU_DEP_3) | instskip(SKIP_1) | instid1(VALU_DEP_3)
	v_lshl_or_b32 v3, v3, 9, 0x7c00
	s_wait_alu 0xf1ff
	v_cndmask_b32_e64 v1, 0x7c00, v1, s0
	v_and_or_b32 v11, 0x1ff, v12, v11
	s_wait_loadcnt 0x0
	v_mul_f16_e32 v18, v24, v15
	s_delay_alu instid0(VALU_DEP_1) | instskip(NEXT) | instid1(VALU_DEP_1)
	v_fmac_f16_e32 v18, v25, v0
	v_cvt_f32_f16_e32 v13, v18
	v_lshrrev_b32_e32 v18, 8, v10
	s_delay_alu instid0(VALU_DEP_2) | instskip(NEXT) | instid1(VALU_DEP_2)
	v_cvt_f64_f32_e32 v[13:14], v13
	v_and_or_b32 v9, 0xffe, v18, v9
	v_sub_nc_u32_e32 v18, 0x3f1, v21
	s_delay_alu instid0(VALU_DEP_2) | instskip(NEXT) | instid1(VALU_DEP_2)
	v_or_b32_e32 v23, 0x1000, v9
	v_med3_i32 v18, v18, 0, 13
	s_delay_alu instid0(VALU_DEP_1) | instskip(NEXT) | instid1(VALU_DEP_1)
	v_lshrrev_b32_e32 v19, v18, v23
	v_lshlrev_b32_e32 v18, v18, v19
	s_delay_alu instid0(VALU_DEP_1)
	v_cmp_ne_u32_e64 s0, v18, v23
	scratch_load_b32 v23, off, off offset:32 th:TH_LOAD_LU ; 4-byte Folded Reload
	s_wait_alu 0xf1ff
	v_cndmask_b32_e64 v18, 0, 1, s0
	v_cmp_eq_u32_e64 s0, 0x40f, v16
	v_mul_f16_e32 v16, v24, v0
	scratch_load_b32 v24, off, off offset:48 th:TH_LOAD_LU ; 4-byte Folded Reload
	v_or_b32_e32 v8, v19, v18
	s_wait_alu 0xf1ff
	v_cndmask_b32_e64 v3, v1, v3, s0
	v_cmp_gt_i32_e64 s0, 1, v20
	v_mul_f64_e32 v[0:1], s[10:11], v[13:14]
	v_lshl_or_b32 v13, v20, 12, v9
	v_fma_f16 v14, v25, v15, -v16
	v_bfe_u32 v15, v12, 20, 11
	v_and_or_b32 v16, 0x8000, v4, v3
	s_wait_alu 0xf1ff
	v_cndmask_b32_e64 v8, v13, v8, s0
	v_cmp_ne_u32_e64 s0, 0, v11
	v_cvt_f32_f16_e32 v13, v14
	v_lshrrev_b32_e32 v14, 8, v12
	v_lshl_or_b32 v16, v16, 16, v7
	v_and_b32_e32 v18, 7, v8
	s_wait_alu 0xf1ff
	v_cndmask_b32_e64 v11, 0, 1, s0
	v_cvt_f64_f32_e32 v[3:4], v13
	v_sub_nc_u32_e32 v13, 0x3f1, v15
	v_lshrrev_b32_e32 v7, 2, v8
	v_cmp_lt_i32_e64 s0, 5, v18
	v_and_or_b32 v11, 0xffe, v14, v11
	v_lshrrev_b32_e32 v14, 16, v2
	v_cmp_eq_u32_e64 s1, 3, v18
	v_med3_i32 v13, v13, 0, 13
	v_add_nc_u32_e32 v15, 0xfffffc10, v15
	v_or_b32_e32 v19, 0x1000, v11
	s_delay_alu instid0(VALU_DEP_4) | instskip(SKIP_2) | instid1(VALU_DEP_2)
	s_or_b32 s0, s1, s0
	s_wait_alu 0xfffe
	v_add_co_ci_u32_e64 v7, s0, 0, v7, s0
	v_lshrrev_b32_e32 v18, v13, v19
	v_cmp_ne_u32_e64 s0, 0, v9
	s_delay_alu instid0(VALU_DEP_2) | instskip(SKIP_1) | instid1(VALU_DEP_2)
	v_lshlrev_b32_e32 v9, v13, v18
	s_wait_alu 0xf1ff
	v_cndmask_b32_e64 v8, 0, 1, s0
	v_cmp_gt_i32_e64 s0, 31, v20
	v_and_or_b32 v0, 0x1ff, v1, v0
	s_delay_alu instid0(VALU_DEP_3) | instskip(SKIP_3) | instid1(VALU_DEP_1)
	v_lshl_or_b32 v22, v8, 9, 0x7c00
	s_wait_loadcnt 0x1
	v_mul_f16_e32 v21, v23, v14
	s_wait_loadcnt 0x0
	v_fmac_f16_e32 v21, v24, v2
	v_mul_f16_e32 v2, v23, v2
	s_delay_alu instid0(VALU_DEP_2)
	v_cvt_f32_f16_e32 v13, v21
	s_wait_alu 0xf1ff
	v_cndmask_b32_e64 v21, 0x7c00, v7, s0
	v_cmp_ne_u32_e64 s0, v9, v19
	v_fma_f16 v14, v24, v14, -v2
	v_lshl_or_b32 v19, v15, 12, v11
	v_cvt_f64_f32_e32 v[7:8], v13
	v_lshrrev_b32_e32 v13, 8, v1
	s_wait_alu 0xf1ff
	v_cndmask_b32_e64 v9, 0, 1, s0
	v_cmp_ne_u32_e64 s0, 0, v0
	v_mul_f64_e32 v[2:3], s[10:11], v[3:4]
	s_delay_alu instid0(VALU_DEP_3) | instskip(SKIP_1) | instid1(VALU_DEP_3)
	v_or_b32_e32 v9, v18, v9
	s_wait_alu 0xf1ff
	v_cndmask_b32_e64 v0, 0, 1, s0
	v_bfe_u32 v18, v1, 20, 11
	v_cmp_gt_i32_e64 s0, 1, v15
	v_lshrrev_b32_e32 v1, 16, v1
	s_delay_alu instid0(VALU_DEP_4) | instskip(NEXT) | instid1(VALU_DEP_4)
	v_and_or_b32 v0, 0xffe, v13, v0
	v_sub_nc_u32_e32 v4, 0x3f1, v18
	v_cvt_f32_f16_e32 v13, v14
	s_wait_alu 0xf1ff
	v_cndmask_b32_e64 v19, v19, v9, s0
	v_cmp_eq_u32_e64 s0, 0x40f, v20
	v_or_b32_e32 v23, 0x1000, v0
	v_med3_i32 v4, v4, 0, 13
	v_cvt_f64_f32_e32 v[13:14], v13
	v_add_nc_u32_e32 v18, 0xfffffc10, v18
	s_wait_alu 0xf1ff
	v_cndmask_b32_e64 v20, v21, v22, s0
	v_and_b32_e32 v22, 7, v19
	v_add_co_u32 v9, s0, v5, s4
	v_lshrrev_b32_e32 v24, v4, v23
	v_lshrrev_b32_e32 v21, 16, v10
	s_wait_alu 0xf1ff
	v_add_co_ci_u32_e64 v10, s0, s5, v6, s0
	v_cmp_lt_i32_e64 s0, 5, v22
	v_cmp_eq_u32_e64 s1, 3, v22
	v_lshrrev_b32_e32 v19, 2, v19
	v_lshlrev_b32_e32 v4, v4, v24
	v_and_or_b32 v20, 0x8000, v21, v20
	v_lshl_or_b32 v21, v18, 12, v0
	s_or_b32 s0, s1, s0
	s_wait_alu 0xfffe
	v_add_co_ci_u32_e64 v19, s0, 0, v19, s0
	v_cmp_ne_u32_e64 s2, v4, v23
	v_cmp_ne_u32_e64 s0, 0, v11
	v_mul_f64_e32 v[7:8], s[10:11], v[7:8]
	v_and_or_b32 v2, 0x1ff, v3, v2
	v_lshrrev_b32_e32 v22, 8, v3
	s_wait_alu 0xf1ff
	v_cndmask_b32_e64 v4, 0, 1, s2
	v_cndmask_b32_e64 v11, 0, 1, s0
	v_cmp_gt_i32_e64 s0, 31, v15
	s_delay_alu instid0(VALU_DEP_3) | instskip(NEXT) | instid1(VALU_DEP_3)
	v_or_b32_e32 v4, v24, v4
	v_lshl_or_b32 v11, v11, 9, 0x7c00
	s_wait_alu 0xf1ff
	s_delay_alu instid0(VALU_DEP_3) | instskip(SKIP_2) | instid1(VALU_DEP_1)
	v_cndmask_b32_e64 v19, 0x7c00, v19, s0
	v_cmp_gt_i32_e64 s0, 1, v18
	s_wait_alu 0xf1ff
	v_cndmask_b32_e64 v4, v21, v4, s0
	v_cmp_eq_u32_e64 s0, 0x40f, v15
	s_delay_alu instid0(VALU_DEP_2) | instskip(SKIP_1) | instid1(VALU_DEP_2)
	v_and_b32_e32 v21, 7, v4
	s_wait_alu 0xf1ff
	v_cndmask_b32_e64 v15, v19, v11, s0
	v_cmp_ne_u32_e64 s0, 0, v2
	v_lshrrev_b32_e32 v19, 16, v12
	v_mul_f64_e32 v[11:12], s[10:11], v[13:14]
	v_bfe_u32 v13, v3, 20, 11
	v_cmp_eq_u32_e64 s1, 3, v21
	s_wait_alu 0xf1ff
	v_cndmask_b32_e64 v2, 0, 1, s0
	v_cmp_lt_i32_e64 s0, 5, v21
	v_lshrrev_b32_e32 v4, 2, v4
	v_and_or_b32 v14, 0x8000, v19, v15
	v_and_b32_e32 v15, 0xffff, v20
	v_and_or_b32 v2, 0xffe, v22, v2
	v_sub_nc_u32_e32 v19, 0x3f1, v13
	s_or_b32 s0, s1, s0
	v_add_nc_u32_e32 v13, 0xfffffc10, v13
	s_wait_alu 0xfffe
	v_add_co_ci_u32_e64 v4, s0, 0, v4, s0
	v_lshl_or_b32 v14, v14, 16, v15
	v_or_b32_e32 v15, 0x1000, v2
	v_med3_i32 v19, v19, 0, 13
	v_cmp_ne_u32_e64 s0, 0, v0
	v_and_or_b32 v7, 0x1ff, v8, v7
	v_lshrrev_b32_e32 v21, 8, v8
	v_bfe_u32 v22, v8, 20, 11
	v_lshrrev_b32_e32 v20, v19, v15
	s_wait_alu 0xf1ff
	v_cndmask_b32_e64 v0, 0, 1, s0
	v_cmp_gt_i32_e64 s0, 31, v18
	v_lshrrev_b32_e32 v3, 16, v3
	v_lshlrev_b32_e32 v19, v19, v20
	s_delay_alu instid0(VALU_DEP_4) | instskip(SKIP_4) | instid1(VALU_DEP_1)
	v_lshl_or_b32 v0, v0, 9, 0x7c00
	s_wait_alu 0xf1ff
	v_cndmask_b32_e64 v4, 0x7c00, v4, s0
	v_cmp_ne_u32_e64 s0, 0, v7
	s_wait_alu 0xf1ff
	v_cndmask_b32_e64 v7, 0, 1, s0
	v_cmp_ne_u32_e64 s0, v19, v15
	v_sub_nc_u32_e32 v19, 0x3f1, v22
	v_and_or_b32 v11, 0x1ff, v12, v11
	s_delay_alu instid0(VALU_DEP_4)
	v_and_or_b32 v7, 0xffe, v21, v7
	s_wait_alu 0xf1ff
	v_cndmask_b32_e64 v15, 0, 1, s0
	v_cmp_eq_u32_e64 s0, 0x40f, v18
	v_med3_i32 v19, v19, 0, 13
	v_bfe_u32 v21, v12, 20, 11
	v_or_b32_e32 v18, 0x1000, v7
	s_wait_alu 0xf1ff
	v_cndmask_b32_e64 v0, v4, v0, s0
	v_or_b32_e32 v4, v20, v15
	v_lshl_or_b32 v15, v13, 12, v2
	v_cmp_gt_i32_e64 s0, 1, v13
	v_lshrrev_b32_e32 v20, 8, v12
	v_and_or_b32 v0, 0x8000, v1, v0
	s_wait_alu 0xf1ff
	s_delay_alu instid0(VALU_DEP_3) | instskip(SKIP_3) | instid1(VALU_DEP_4)
	v_cndmask_b32_e64 v4, v15, v4, s0
	v_lshrrev_b32_e32 v15, v19, v18
	v_cmp_ne_u32_e64 s0, 0, v11
	v_and_b32_e32 v0, 0xffff, v0
	v_and_b32_e32 v23, 7, v4
	s_delay_alu instid0(VALU_DEP_4)
	v_lshlrev_b32_e32 v19, v19, v15
	s_wait_alu 0xf1ff
	v_cndmask_b32_e64 v11, 0, 1, s0
	v_lshrrev_b32_e32 v4, 2, v4
	v_cmp_lt_i32_e64 s0, 5, v23
	v_cmp_ne_u32_e64 s1, v19, v18
	s_delay_alu instid0(VALU_DEP_4)
	v_and_or_b32 v1, 0xffe, v20, v11
	v_sub_nc_u32_e32 v11, 0x3f1, v21
	v_add_nc_u32_e32 v20, 0xfffffc10, v22
	s_wait_alu 0xf1ff
	v_cndmask_b32_e64 v18, 0, 1, s1
	v_cmp_eq_u32_e64 s1, 3, v23
	v_or_b32_e32 v19, 0x1000, v1
	v_med3_i32 v11, v11, 0, 13
	v_lshl_or_b32 v22, v20, 12, v7
	v_or_b32_e32 v15, v15, v18
	s_or_b32 s0, s1, s0
	s_wait_alu 0xfffe
	v_add_co_ci_u32_e64 v4, s0, 0, v4, s0
	v_lshrrev_b32_e32 v18, v11, v19
	v_cmp_gt_i32_e64 s0, 1, v20
	s_delay_alu instid0(VALU_DEP_2) | instskip(SKIP_1) | instid1(VALU_DEP_2)
	v_lshlrev_b32_e32 v11, v11, v18
	s_wait_alu 0xf1ff
	v_cndmask_b32_e64 v15, v22, v15, s0
	v_cmp_ne_u32_e64 s0, 0, v2
	s_wait_alu 0xf1ff
	s_delay_alu instid0(VALU_DEP_1) | instskip(SKIP_3) | instid1(VALU_DEP_4)
	v_cndmask_b32_e64 v2, 0, 1, s0
	v_cmp_ne_u32_e64 s0, v11, v19
	v_add_nc_u32_e32 v19, 0xfffffc10, v21
	v_and_b32_e32 v21, 7, v15
	v_lshl_or_b32 v2, v2, 9, 0x7c00
	s_wait_alu 0xf1ff
	v_cndmask_b32_e64 v11, 0, 1, s0
	v_cmp_gt_i32_e64 s0, 31, v13
	v_cmp_gt_i32_e64 s2, 1, v19
	v_cmp_eq_u32_e64 s1, 3, v21
	s_delay_alu instid0(VALU_DEP_4) | instskip(SKIP_4) | instid1(VALU_DEP_3)
	v_or_b32_e32 v11, v18, v11
	v_lshl_or_b32 v18, v19, 12, v1
	s_wait_alu 0xf1ff
	v_cndmask_b32_e64 v4, 0x7c00, v4, s0
	v_cmp_lt_i32_e64 s0, 5, v21
	v_cndmask_b32_e64 v11, v18, v11, s2
	v_cmp_eq_u32_e64 s2, 0x40f, v13
	s_delay_alu instid0(VALU_DEP_3) | instskip(NEXT) | instid1(VALU_DEP_2)
	s_or_b32 s0, s1, s0
	v_and_b32_e32 v13, 7, v11
	s_delay_alu instid0(VALU_DEP_2)
	v_cndmask_b32_e64 v2, v4, v2, s2
	v_lshrrev_b32_e32 v4, 2, v15
	v_lshrrev_b32_e32 v11, 2, v11
	v_cmp_gt_i32_e64 s2, 31, v20
	v_cmp_eq_u32_e64 s1, 3, v13
	s_wait_alu 0xfffe
	v_add_co_ci_u32_e64 v4, s0, 0, v4, s0
	v_cmp_ne_u32_e64 s0, 0, v7
	s_wait_alu 0xf1ff
	s_delay_alu instid0(VALU_DEP_2) | instskip(NEXT) | instid1(VALU_DEP_2)
	v_cndmask_b32_e64 v4, 0x7c00, v4, s2
	v_cndmask_b32_e64 v7, 0, 1, s0
	v_cmp_lt_i32_e64 s0, 5, v13
	s_delay_alu instid0(VALU_DEP_2) | instskip(NEXT) | instid1(VALU_DEP_2)
	v_lshl_or_b32 v7, v7, 9, 0x7c00
	s_or_b32 s0, s1, s0
	s_wait_alu 0xfffe
	v_add_co_ci_u32_e64 v11, s0, 0, v11, s0
	v_cmp_ne_u32_e64 s0, 0, v1
	s_wait_alu 0xf1ff
	s_delay_alu instid0(VALU_DEP_1) | instskip(SKIP_1) | instid1(VALU_DEP_2)
	v_cndmask_b32_e64 v1, 0, 1, s0
	v_cmp_eq_u32_e64 s0, 0x40f, v20
	v_lshl_or_b32 v1, v1, 9, 0x7c00
	s_wait_alu 0xf1ff
	s_delay_alu instid0(VALU_DEP_2) | instskip(SKIP_3) | instid1(VALU_DEP_2)
	v_cndmask_b32_e64 v4, v4, v7, s0
	v_cmp_gt_i32_e64 s0, 31, v19
	v_lshrrev_b32_e32 v7, 16, v8
	s_wait_alu 0xf1ff
	v_cndmask_b32_e64 v8, 0x7c00, v11, s0
	v_cmp_eq_u32_e64 s0, 0x40f, v19
	v_and_or_b32 v11, 0x8000, v3, v2
	v_and_or_b32 v4, 0x8000, v7, v4
	v_lshrrev_b32_e32 v7, 16, v12
	s_wait_alu 0xf1ff
	v_cndmask_b32_e64 v1, v8, v1, s0
	v_add_co_u32 v2, s0, v9, s6
	s_wait_alu 0xf1ff
	v_add_co_ci_u32_e64 v3, s0, s7, v10, s0
	v_lshl_or_b32 v11, v11, 16, v0
	v_and_or_b32 v0, 0x8000, v7, v1
	v_and_b32_e32 v1, 0xffff, v4
	v_add_co_u32 v7, s0, v2, s4
	s_wait_alu 0xf1ff
	v_add_co_ci_u32_e64 v8, s0, s5, v3, s0
	s_delay_alu instid0(VALU_DEP_3) | instskip(NEXT) | instid1(VALU_DEP_3)
	v_lshl_or_b32 v4, v0, 16, v1
	v_add_co_u32 v0, s0, v7, s6
	s_wait_alu 0xf1ff
	s_delay_alu instid0(VALU_DEP_3)
	v_add_co_ci_u32_e64 v1, s0, s7, v8, s0
	global_store_b32 v[5:6], v17, off
	global_store_b32 v[9:10], v16, off
	;; [unrolled: 1-line block ×5, first 2 shown]
	s_and_b32 exec_lo, exec_lo, vcc_lo
	s_cbranch_execz .LBB0_31
; %bb.30:
	global_load_b32 v2, v[245:246], off offset:1904
	ds_load_b32 v3, v63 offset:1904
	ds_load_b32 v6, v63 offset:3944
	s_wait_dscnt 0x1
	v_lshrrev_b32_e32 v4, 16, v3
	s_wait_loadcnt 0x0
	v_lshrrev_b32_e32 v5, 16, v2
	s_delay_alu instid0(VALU_DEP_1) | instskip(SKIP_1) | instid1(VALU_DEP_2)
	v_mul_f16_e32 v7, v4, v5
	v_mul_f16_e32 v5, v3, v5
	v_fmac_f16_e32 v7, v3, v2
	s_delay_alu instid0(VALU_DEP_2) | instskip(NEXT) | instid1(VALU_DEP_2)
	v_fma_f16 v2, v2, v4, -v5
	v_cvt_f32_f16_e32 v3, v7
	s_delay_alu instid0(VALU_DEP_2) | instskip(NEXT) | instid1(VALU_DEP_2)
	v_cvt_f32_f16_e32 v4, v2
	v_cvt_f64_f32_e32 v[2:3], v3
	s_delay_alu instid0(VALU_DEP_2) | instskip(NEXT) | instid1(VALU_DEP_2)
	v_cvt_f64_f32_e32 v[4:5], v4
	v_mul_f64_e32 v[2:3], s[10:11], v[2:3]
	s_delay_alu instid0(VALU_DEP_2) | instskip(NEXT) | instid1(VALU_DEP_2)
	v_mul_f64_e32 v[4:5], s[10:11], v[4:5]
	v_and_or_b32 v2, 0x1ff, v3, v2
	s_delay_alu instid0(VALU_DEP_2)
	v_and_or_b32 v4, 0x1ff, v5, v4
	v_lshrrev_b32_e32 v7, 8, v3
	v_bfe_u32 v8, v3, 20, 11
	v_lshrrev_b32_e32 v9, 8, v5
	v_cmp_ne_u32_e32 vcc_lo, 0, v2
	v_bfe_u32 v10, v5, 20, 11
	v_lshrrev_b32_e32 v3, 16, v3
	v_sub_nc_u32_e32 v11, 0x3f1, v8
	v_lshrrev_b32_e32 v5, 16, v5
	s_wait_alu 0xfffd
	v_cndmask_b32_e64 v2, 0, 1, vcc_lo
	v_cmp_ne_u32_e32 vcc_lo, 0, v4
	s_delay_alu instid0(VALU_DEP_2) | instskip(SKIP_3) | instid1(VALU_DEP_2)
	v_and_or_b32 v2, 0xffe, v7, v2
	s_wait_alu 0xfffd
	v_cndmask_b32_e64 v4, 0, 1, vcc_lo
	v_sub_nc_u32_e32 v7, 0x3f1, v10
	v_and_or_b32 v4, 0xffe, v9, v4
	v_med3_i32 v9, v11, 0, 13
	v_or_b32_e32 v11, 0x1000, v2
	s_delay_alu instid0(VALU_DEP_4) | instskip(NEXT) | instid1(VALU_DEP_4)
	v_med3_i32 v7, v7, 0, 13
	v_or_b32_e32 v12, 0x1000, v4
	s_delay_alu instid0(VALU_DEP_3) | instskip(NEXT) | instid1(VALU_DEP_2)
	v_lshrrev_b32_e32 v13, v9, v11
	v_lshrrev_b32_e32 v14, v7, v12
	s_delay_alu instid0(VALU_DEP_2) | instskip(NEXT) | instid1(VALU_DEP_2)
	v_lshlrev_b32_e32 v9, v9, v13
	v_lshlrev_b32_e32 v7, v7, v14
	s_delay_alu instid0(VALU_DEP_2) | instskip(SKIP_2) | instid1(VALU_DEP_3)
	v_cmp_ne_u32_e32 vcc_lo, v9, v11
	s_wait_alu 0xfffd
	v_cndmask_b32_e64 v9, 0, 1, vcc_lo
	v_cmp_ne_u32_e32 vcc_lo, v7, v12
	s_delay_alu instid0(VALU_DEP_2) | instskip(SKIP_3) | instid1(VALU_DEP_2)
	v_or_b32_e32 v9, v13, v9
	v_add_nc_u32_e32 v8, 0xfffffc10, v8
	s_wait_alu 0xfffd
	v_cndmask_b32_e64 v7, 0, 1, vcc_lo
	v_lshl_or_b32 v11, v8, 12, v2
	s_delay_alu instid0(VALU_DEP_2) | instskip(SKIP_2) | instid1(VALU_DEP_2)
	v_or_b32_e32 v7, v14, v7
	v_add_nc_u32_e32 v10, 0xfffffc10, v10
	v_cmp_gt_i32_e32 vcc_lo, 1, v8
	v_lshl_or_b32 v12, v10, 12, v4
	s_wait_alu 0xfffd
	v_cndmask_b32_e32 v9, v11, v9, vcc_lo
	v_cmp_gt_i32_e32 vcc_lo, 1, v10
	s_wait_alu 0xfffd
	v_cndmask_b32_e32 v7, v12, v7, vcc_lo
	v_cmp_ne_u32_e32 vcc_lo, 0, v2
	s_wait_alu 0xfffd
	v_cndmask_b32_e64 v2, 0, 1, vcc_lo
	v_cmp_ne_u32_e32 vcc_lo, 0, v4
	s_delay_alu instid0(VALU_DEP_2) | instskip(SKIP_4) | instid1(VALU_DEP_3)
	v_lshl_or_b32 v2, v2, 9, 0x7c00
	v_and_b32_e32 v11, 7, v9
	s_wait_alu 0xfffd
	v_cndmask_b32_e64 v4, 0, 1, vcc_lo
	v_lshrrev_b32_e32 v9, 2, v9
	v_cmp_lt_i32_e32 vcc_lo, 5, v11
	v_cmp_eq_u32_e64 s0, 3, v11
	s_delay_alu instid0(VALU_DEP_4) | instskip(NEXT) | instid1(VALU_DEP_2)
	v_lshl_or_b32 v4, v4, 9, 0x7c00
	s_or_b32 vcc_lo, s0, vcc_lo
	s_wait_alu 0xfffe
	v_add_co_ci_u32_e32 v9, vcc_lo, 0, v9, vcc_lo
	v_and_b32_e32 v12, 7, v7
	v_lshrrev_b32_e32 v7, 2, v7
	s_delay_alu instid0(VALU_DEP_2) | instskip(SKIP_1) | instid1(VALU_DEP_1)
	v_cmp_lt_i32_e64 s1, 5, v12
	v_cmp_eq_u32_e64 s2, 3, v12
	s_or_b32 vcc_lo, s2, s1
	s_wait_alu 0xfffe
	v_add_co_ci_u32_e32 v7, vcc_lo, 0, v7, vcc_lo
	v_cmp_gt_i32_e32 vcc_lo, 31, v8
	s_wait_alu 0xfffd
	v_cndmask_b32_e32 v9, 0x7c00, v9, vcc_lo
	v_cmp_gt_i32_e32 vcc_lo, 31, v10
	s_wait_alu 0xfffd
	v_cndmask_b32_e32 v7, 0x7c00, v7, vcc_lo
	v_cmp_eq_u32_e32 vcc_lo, 0x40f, v8
	s_wait_alu 0xfffd
	v_cndmask_b32_e32 v2, v9, v2, vcc_lo
	v_cmp_eq_u32_e32 vcc_lo, 0x40f, v10
	s_delay_alu instid0(VALU_DEP_2)
	v_and_or_b32 v2, 0x8000, v3, v2
	s_wait_alu 0xfffd
	v_cndmask_b32_e32 v4, v7, v4, vcc_lo
	v_add_co_u32 v0, vcc_lo, v0, s4
	s_wait_alu 0xfffd
	v_add_co_ci_u32_e32 v1, vcc_lo, s5, v1, vcc_lo
	s_delay_alu instid0(VALU_DEP_3) | instskip(SKIP_1) | instid1(VALU_DEP_1)
	v_and_or_b32 v3, 0x8000, v5, v4
	v_and_b32_e32 v2, 0xffff, v2
	v_lshl_or_b32 v2, v3, 16, v2
	s_wait_dscnt 0x0
	v_lshrrev_b32_e32 v3, 16, v6
	global_store_b32 v[0:1], v2, off
	global_load_b32 v2, v[245:246], off offset:3944
	s_wait_loadcnt 0x0
	v_lshrrev_b32_e32 v4, 16, v2
	s_delay_alu instid0(VALU_DEP_1) | instskip(SKIP_1) | instid1(VALU_DEP_2)
	v_mul_f16_e32 v5, v3, v4
	v_mul_f16_e32 v4, v6, v4
	v_fmac_f16_e32 v5, v6, v2
	s_delay_alu instid0(VALU_DEP_2) | instskip(NEXT) | instid1(VALU_DEP_2)
	v_fma_f16 v2, v2, v3, -v4
	v_cvt_f32_f16_e32 v3, v5
	s_delay_alu instid0(VALU_DEP_2) | instskip(NEXT) | instid1(VALU_DEP_2)
	v_cvt_f32_f16_e32 v4, v2
	v_cvt_f64_f32_e32 v[2:3], v3
	s_delay_alu instid0(VALU_DEP_2) | instskip(NEXT) | instid1(VALU_DEP_2)
	v_cvt_f64_f32_e32 v[4:5], v4
	v_mul_f64_e32 v[2:3], s[10:11], v[2:3]
	s_delay_alu instid0(VALU_DEP_2) | instskip(NEXT) | instid1(VALU_DEP_2)
	v_mul_f64_e32 v[4:5], s[10:11], v[4:5]
	v_and_or_b32 v2, 0x1ff, v3, v2
	s_delay_alu instid0(VALU_DEP_2)
	v_and_or_b32 v4, 0x1ff, v5, v4
	v_lshrrev_b32_e32 v6, 8, v3
	v_bfe_u32 v7, v3, 20, 11
	v_lshrrev_b32_e32 v8, 8, v5
	v_cmp_ne_u32_e32 vcc_lo, 0, v2
	v_bfe_u32 v9, v5, 20, 11
	v_lshrrev_b32_e32 v3, 16, v3
	v_sub_nc_u32_e32 v10, 0x3f1, v7
	v_lshrrev_b32_e32 v5, 16, v5
	s_wait_alu 0xfffd
	v_cndmask_b32_e64 v2, 0, 1, vcc_lo
	v_cmp_ne_u32_e32 vcc_lo, 0, v4
	s_delay_alu instid0(VALU_DEP_2) | instskip(SKIP_4) | instid1(VALU_DEP_3)
	v_and_or_b32 v2, 0xffe, v6, v2
	s_wait_alu 0xfffd
	v_cndmask_b32_e64 v4, 0, 1, vcc_lo
	v_sub_nc_u32_e32 v6, 0x3f1, v9
	v_add_nc_u32_e32 v9, 0xfffffc10, v9
	v_and_or_b32 v4, 0xffe, v8, v4
	v_med3_i32 v8, v10, 0, 13
	v_or_b32_e32 v10, 0x1000, v2
	v_med3_i32 v6, v6, 0, 13
	s_delay_alu instid0(VALU_DEP_4) | instskip(NEXT) | instid1(VALU_DEP_3)
	v_or_b32_e32 v11, 0x1000, v4
	v_lshrrev_b32_e32 v12, v8, v10
	s_delay_alu instid0(VALU_DEP_2) | instskip(NEXT) | instid1(VALU_DEP_2)
	v_lshrrev_b32_e32 v13, v6, v11
	v_lshlrev_b32_e32 v8, v8, v12
	s_delay_alu instid0(VALU_DEP_2) | instskip(NEXT) | instid1(VALU_DEP_2)
	v_lshlrev_b32_e32 v6, v6, v13
	v_cmp_ne_u32_e32 vcc_lo, v8, v10
	s_wait_alu 0xfffd
	v_cndmask_b32_e64 v8, 0, 1, vcc_lo
	s_delay_alu instid0(VALU_DEP_3) | instskip(SKIP_1) | instid1(VALU_DEP_3)
	v_cmp_ne_u32_e32 vcc_lo, v6, v11
	v_lshl_or_b32 v11, v9, 12, v4
	v_or_b32_e32 v8, v12, v8
	s_wait_alu 0xfffd
	v_cndmask_b32_e64 v6, 0, 1, vcc_lo
	s_delay_alu instid0(VALU_DEP_1) | instskip(SKIP_1) | instid1(VALU_DEP_1)
	v_or_b32_e32 v6, v13, v6
	v_add_nc_u32_e32 v7, 0xfffffc10, v7
	v_lshl_or_b32 v10, v7, 12, v2
	v_cmp_gt_i32_e32 vcc_lo, 1, v7
	s_wait_alu 0xfffd
	s_delay_alu instid0(VALU_DEP_2) | instskip(SKIP_1) | instid1(VALU_DEP_2)
	v_cndmask_b32_e32 v8, v10, v8, vcc_lo
	v_cmp_gt_i32_e32 vcc_lo, 1, v9
	v_and_b32_e32 v10, 7, v8
	s_wait_alu 0xfffd
	v_cndmask_b32_e32 v6, v11, v6, vcc_lo
	v_cmp_ne_u32_e32 vcc_lo, 0, v2
	v_lshrrev_b32_e32 v8, 2, v8
	v_cmp_eq_u32_e64 s0, 3, v10
	s_wait_alu 0xfffd
	v_cndmask_b32_e64 v2, 0, 1, vcc_lo
	v_cmp_ne_u32_e32 vcc_lo, 0, v4
	s_delay_alu instid0(VALU_DEP_2) | instskip(SKIP_3) | instid1(VALU_DEP_2)
	v_lshl_or_b32 v2, v2, 9, 0x7c00
	s_wait_alu 0xfffd
	v_cndmask_b32_e64 v4, 0, 1, vcc_lo
	v_cmp_lt_i32_e32 vcc_lo, 5, v10
	v_lshl_or_b32 v4, v4, 9, 0x7c00
	s_or_b32 vcc_lo, s0, vcc_lo
	s_wait_alu 0xfffe
	v_add_co_ci_u32_e32 v8, vcc_lo, 0, v8, vcc_lo
	v_and_b32_e32 v11, 7, v6
	v_lshrrev_b32_e32 v6, 2, v6
	s_delay_alu instid0(VALU_DEP_2) | instskip(SKIP_1) | instid1(VALU_DEP_1)
	v_cmp_lt_i32_e64 s1, 5, v11
	v_cmp_eq_u32_e64 s2, 3, v11
	s_or_b32 vcc_lo, s2, s1
	s_wait_alu 0xfffe
	v_add_co_ci_u32_e32 v6, vcc_lo, 0, v6, vcc_lo
	v_cmp_gt_i32_e32 vcc_lo, 31, v7
	s_wait_alu 0xfffd
	v_cndmask_b32_e32 v8, 0x7c00, v8, vcc_lo
	v_cmp_gt_i32_e32 vcc_lo, 31, v9
	s_wait_alu 0xfffd
	v_cndmask_b32_e32 v6, 0x7c00, v6, vcc_lo
	v_cmp_eq_u32_e32 vcc_lo, 0x40f, v7
	s_wait_alu 0xfffd
	v_cndmask_b32_e32 v2, v8, v2, vcc_lo
	v_cmp_eq_u32_e32 vcc_lo, 0x40f, v9
	s_delay_alu instid0(VALU_DEP_2)
	v_and_or_b32 v2, 0x8000, v3, v2
	s_wait_alu 0xfffd
	v_cndmask_b32_e32 v4, v6, v4, vcc_lo
	v_add_co_u32 v0, vcc_lo, v0, s6
	s_wait_alu 0xfffd
	v_add_co_ci_u32_e32 v1, vcc_lo, s7, v1, vcc_lo
	s_delay_alu instid0(VALU_DEP_3) | instskip(SKIP_1) | instid1(VALU_DEP_1)
	v_and_or_b32 v3, 0x8000, v5, v4
	v_and_b32_e32 v2, 0xffff, v2
	v_lshl_or_b32 v2, v3, 16, v2
	global_store_b32 v[0:1], v2, off
.LBB0_31:
	s_nop 0
	s_sendmsg sendmsg(MSG_DEALLOC_VGPRS)
	s_endpgm
	.section	.rodata,"a",@progbits
	.p2align	6, 0x0
	.amdhsa_kernel bluestein_single_fwd_len1020_dim1_half_op_CI_CI
		.amdhsa_group_segment_fixed_size 12240
		.amdhsa_private_segment_fixed_size 92
		.amdhsa_kernarg_size 104
		.amdhsa_user_sgpr_count 2
		.amdhsa_user_sgpr_dispatch_ptr 0
		.amdhsa_user_sgpr_queue_ptr 0
		.amdhsa_user_sgpr_kernarg_segment_ptr 1
		.amdhsa_user_sgpr_dispatch_id 0
		.amdhsa_user_sgpr_private_segment_size 0
		.amdhsa_wavefront_size32 1
		.amdhsa_uses_dynamic_stack 0
		.amdhsa_enable_private_segment 1
		.amdhsa_system_sgpr_workgroup_id_x 1
		.amdhsa_system_sgpr_workgroup_id_y 0
		.amdhsa_system_sgpr_workgroup_id_z 0
		.amdhsa_system_sgpr_workgroup_info 0
		.amdhsa_system_vgpr_workitem_id 0
		.amdhsa_next_free_vgpr 256
		.amdhsa_next_free_sgpr 18
		.amdhsa_reserve_vcc 1
		.amdhsa_float_round_mode_32 0
		.amdhsa_float_round_mode_16_64 0
		.amdhsa_float_denorm_mode_32 3
		.amdhsa_float_denorm_mode_16_64 3
		.amdhsa_fp16_overflow 0
		.amdhsa_workgroup_processor_mode 1
		.amdhsa_memory_ordered 1
		.amdhsa_forward_progress 0
		.amdhsa_round_robin_scheduling 0
		.amdhsa_exception_fp_ieee_invalid_op 0
		.amdhsa_exception_fp_denorm_src 0
		.amdhsa_exception_fp_ieee_div_zero 0
		.amdhsa_exception_fp_ieee_overflow 0
		.amdhsa_exception_fp_ieee_underflow 0
		.amdhsa_exception_fp_ieee_inexact 0
		.amdhsa_exception_int_div_zero 0
	.end_amdhsa_kernel
	.text
.Lfunc_end0:
	.size	bluestein_single_fwd_len1020_dim1_half_op_CI_CI, .Lfunc_end0-bluestein_single_fwd_len1020_dim1_half_op_CI_CI
                                        ; -- End function
	.section	.AMDGPU.csdata,"",@progbits
; Kernel info:
; codeLenInByte = 41776
; NumSgprs: 20
; NumVgprs: 256
; ScratchSize: 92
; MemoryBound: 0
; FloatMode: 240
; IeeeMode: 1
; LDSByteSize: 12240 bytes/workgroup (compile time only)
; SGPRBlocks: 2
; VGPRBlocks: 31
; NumSGPRsForWavesPerEU: 20
; NumVGPRsForWavesPerEU: 256
; Occupancy: 5
; WaveLimiterHint : 1
; COMPUTE_PGM_RSRC2:SCRATCH_EN: 1
; COMPUTE_PGM_RSRC2:USER_SGPR: 2
; COMPUTE_PGM_RSRC2:TRAP_HANDLER: 0
; COMPUTE_PGM_RSRC2:TGID_X_EN: 1
; COMPUTE_PGM_RSRC2:TGID_Y_EN: 0
; COMPUTE_PGM_RSRC2:TGID_Z_EN: 0
; COMPUTE_PGM_RSRC2:TIDIG_COMP_CNT: 0
	.text
	.p2alignl 7, 3214868480
	.fill 96, 4, 3214868480
	.type	__hip_cuid_f0ca9ba069eb280f,@object ; @__hip_cuid_f0ca9ba069eb280f
	.section	.bss,"aw",@nobits
	.globl	__hip_cuid_f0ca9ba069eb280f
__hip_cuid_f0ca9ba069eb280f:
	.byte	0                               ; 0x0
	.size	__hip_cuid_f0ca9ba069eb280f, 1

	.ident	"AMD clang version 19.0.0git (https://github.com/RadeonOpenCompute/llvm-project roc-6.4.0 25133 c7fe45cf4b819c5991fe208aaa96edf142730f1d)"
	.section	".note.GNU-stack","",@progbits
	.addrsig
	.addrsig_sym __hip_cuid_f0ca9ba069eb280f
	.amdgpu_metadata
---
amdhsa.kernels:
  - .args:
      - .actual_access:  read_only
        .address_space:  global
        .offset:         0
        .size:           8
        .value_kind:     global_buffer
      - .actual_access:  read_only
        .address_space:  global
        .offset:         8
        .size:           8
        .value_kind:     global_buffer
      - .actual_access:  read_only
        .address_space:  global
        .offset:         16
        .size:           8
        .value_kind:     global_buffer
      - .actual_access:  read_only
        .address_space:  global
        .offset:         24
        .size:           8
        .value_kind:     global_buffer
      - .actual_access:  read_only
        .address_space:  global
        .offset:         32
        .size:           8
        .value_kind:     global_buffer
      - .offset:         40
        .size:           8
        .value_kind:     by_value
      - .address_space:  global
        .offset:         48
        .size:           8
        .value_kind:     global_buffer
      - .address_space:  global
        .offset:         56
        .size:           8
        .value_kind:     global_buffer
      - .address_space:  global
        .offset:         64
        .size:           8
        .value_kind:     global_buffer
      - .address_space:  global
        .offset:         72
        .size:           8
        .value_kind:     global_buffer
      - .offset:         80
        .size:           4
        .value_kind:     by_value
      - .address_space:  global
        .offset:         88
        .size:           8
        .value_kind:     global_buffer
      - .address_space:  global
        .offset:         96
        .size:           8
        .value_kind:     global_buffer
    .group_segment_fixed_size: 12240
    .kernarg_segment_align: 8
    .kernarg_segment_size: 104
    .language:       OpenCL C
    .language_version:
      - 2
      - 0
    .max_flat_workgroup_size: 204
    .name:           bluestein_single_fwd_len1020_dim1_half_op_CI_CI
    .private_segment_fixed_size: 92
    .sgpr_count:     20
    .sgpr_spill_count: 0
    .symbol:         bluestein_single_fwd_len1020_dim1_half_op_CI_CI.kd
    .uniform_work_group_size: 1
    .uses_dynamic_stack: false
    .vgpr_count:     256
    .vgpr_spill_count: 22
    .wavefront_size: 32
    .workgroup_processor_mode: 1
amdhsa.target:   amdgcn-amd-amdhsa--gfx1201
amdhsa.version:
  - 1
  - 2
...

	.end_amdgpu_metadata
